;; amdgpu-corpus repo=vllm-project/vllm kind=compiled arch=gfx90a opt=O3
	.text
	.amdgcn_target "amdgcn-amd-amdhsa--gfx90a"
	.amdhsa_code_object_version 6
	.section	.text._ZN4vllm15rms_norm_kernelIfLi16ELi2EEEvPT_PKS1_lllllS4_fii,"axG",@progbits,_ZN4vllm15rms_norm_kernelIfLi16ELi2EEEvPT_PKS1_lllllS4_fii,comdat
	.protected	_ZN4vllm15rms_norm_kernelIfLi16ELi2EEEvPT_PKS1_lllllS4_fii ; -- Begin function _ZN4vllm15rms_norm_kernelIfLi16ELi2EEEvPT_PKS1_lllllS4_fii
	.globl	_ZN4vllm15rms_norm_kernelIfLi16ELi2EEEvPT_PKS1_lllllS4_fii
	.p2align	8
	.type	_ZN4vllm15rms_norm_kernelIfLi16ELi2EEEvPT_PKS1_lllllS4_fii,@function
_ZN4vllm15rms_norm_kernelIfLi16ELi2EEEvPT_PKS1_lllllS4_fii: ; @_ZN4vllm15rms_norm_kernelIfLi16ELi2EEEvPT_PKS1_lllllS4_fii
; %bb.0:
	s_load_dwordx4 s[0:3], s[4:5], 0x8
	s_load_dword s7, s[4:5], 0x48
	s_load_dword s8, s[4:5], 0x5c
	s_waitcnt lgkmcnt(0)
	s_mul_i32 s3, s6, s3
	s_mul_hi_u32 s9, s6, s2
	s_add_i32 s3, s9, s3
	s_mul_i32 s2, s6, s2
	s_lshl_b64 s[2:3], s[2:3], 2
	s_add_u32 s14, s0, s2
	s_addc_u32 s15, s1, s3
	s_and_b32 s16, s8, 0xffff
	s_and_b32 s8, s14, 63
	s_mov_b32 s9, 0
	s_cmp_lg_u64 s[8:9], 0
	s_cselect_b64 s[8:9], -1, 0
	s_and_b32 s10, s7, 15
	s_cmp_lg_u32 s10, 0
	s_cselect_b64 s[10:11], -1, 0
	s_or_b64 s[8:9], s[8:9], s[10:11]
	s_and_b64 vcc, exec, s[8:9]
	s_cbranch_vccz .LBB0_14
; %bb.1:
	s_sub_i32 s8, 0, s14
	s_bfe_u32 s8, s8, 0x40002
	s_min_i32 s8, s8, s7
	v_cmp_gt_i32_e32 vcc, s8, v0
	v_mov_b32_e32 v1, 0
	s_and_saveexec_b64 s[10:11], vcc
	s_cbranch_execz .LBB0_5
; %bb.2:
	s_add_u32 s9, s0, s2
	v_lshlrev_b32_e32 v1, 2, v0
	s_addc_u32 s12, s1, s3
	s_mov_b32 s17, 0
	v_mov_b32_e32 v3, s12
	v_add_co_u32_e32 v2, vcc, s9, v1
	v_addc_co_u32_e32 v3, vcc, 0, v3, vcc
	s_lshl_b32 s9, s16, 2
	s_mov_b64 s[12:13], 0
	v_mov_b32_e32 v1, 0
	v_mov_b32_e32 v4, s17
	;; [unrolled: 1-line block ×3, first 2 shown]
.LBB0_3:                                ; =>This Inner Loop Header: Depth=1
	global_load_dword v6, v[2:3], off
	v_add_co_u32_e32 v2, vcc, s9, v2
	v_add_u32_e32 v5, s16, v5
	v_addc_co_u32_e32 v3, vcc, v3, v4, vcc
	v_cmp_le_i32_e32 vcc, s8, v5
	s_or_b64 s[12:13], vcc, s[12:13]
	s_waitcnt vmcnt(0)
	v_fmac_f32_e32 v1, v6, v6
	s_andn2_b64 exec, exec, s[12:13]
	s_cbranch_execnz .LBB0_3
; %bb.4:
	s_or_b64 exec, exec, s[12:13]
.LBB0_5:
	s_or_b64 exec, exec, s[10:11]
	s_sub_i32 s17, s7, s8
	s_ashr_i32 s10, s17, 31
	s_lshr_b32 s10, s10, 28
	s_add_i32 s10, s17, s10
	s_ashr_i32 s18, s10, 4
	s_ashr_i32 s9, s8, 31
	v_cmp_gt_i32_e32 vcc, s18, v0
	s_and_saveexec_b64 s[10:11], vcc
	s_cbranch_execz .LBB0_9
; %bb.6:
	s_lshl_b64 s[12:13], s[8:9], 2
	s_add_u32 s12, s0, s12
	s_addc_u32 s13, s1, s13
	s_add_u32 s12, s12, s2
	v_lshlrev_b32_e32 v2, 6, v0
	s_addc_u32 s13, s13, s3
	s_mov_b32 s20, 0
	v_mov_b32_e32 v3, s13
	v_add_co_u32_e32 v2, vcc, s12, v2
	v_addc_co_u32_e32 v3, vcc, 0, v3, vcc
	s_lshl_b32 s19, s16, 6
	s_mov_b64 s[12:13], 0
	v_mov_b32_e32 v4, s20
	v_mov_b32_e32 v5, v0
.LBB0_7:                                ; =>This Inner Loop Header: Depth=1
	global_load_dwordx4 v[6:9], v[2:3], off
	global_load_dwordx4 v[10:13], v[2:3], off offset:16
	global_load_dwordx4 v[14:17], v[2:3], off offset:32
	;; [unrolled: 1-line block ×3, first 2 shown]
	v_add_co_u32_e32 v2, vcc, s19, v2
	v_add_u32_e32 v5, s16, v5
	v_addc_co_u32_e32 v3, vcc, v3, v4, vcc
	v_cmp_le_i32_e32 vcc, s18, v5
	s_or_b64 s[12:13], vcc, s[12:13]
	s_waitcnt vmcnt(3)
	v_fmac_f32_e32 v1, v6, v6
	v_fmac_f32_e32 v1, v7, v7
	v_fmac_f32_e32 v1, v8, v8
	v_fmac_f32_e32 v1, v9, v9
	s_waitcnt vmcnt(2)
	v_fmac_f32_e32 v1, v10, v10
	v_fmac_f32_e32 v1, v11, v11
	v_fmac_f32_e32 v1, v12, v12
	v_fmac_f32_e32 v1, v13, v13
	;; [unrolled: 5-line block ×4, first 2 shown]
	s_andn2_b64 exec, exec, s[12:13]
	s_cbranch_execnz .LBB0_7
; %bb.8:
	s_or_b64 exec, exec, s[12:13]
.LBB0_9:
	s_or_b64 exec, exec, s[10:11]
	v_lshl_add_u32 v2, s18, 4, v0
	v_cmp_gt_i32_e32 vcc, s17, v2
	s_and_saveexec_b64 s[10:11], vcc
	s_cbranch_execz .LBB0_13
; %bb.10:
	s_lshl_b64 s[8:9], s[8:9], 2
	s_add_u32 s8, s2, s8
	s_addc_u32 s9, s3, s9
	v_ashrrev_i32_e32 v3, 31, v2
	s_add_u32 s8, s0, s8
	v_lshlrev_b64 v[4:5], 2, v[2:3]
	s_addc_u32 s9, s1, s9
	v_mov_b32_e32 v3, s9
	v_add_co_u32_e32 v4, vcc, s8, v4
	s_mov_b32 s13, 0
	v_addc_co_u32_e32 v5, vcc, v3, v5, vcc
	s_lshl_b32 s12, s16, 2
	s_mov_b64 s[8:9], 0
	v_mov_b32_e32 v3, s13
.LBB0_11:                               ; =>This Inner Loop Header: Depth=1
	global_load_dword v6, v[4:5], off
	v_add_co_u32_e32 v4, vcc, s12, v4
	v_add_u32_e32 v2, s16, v2
	v_addc_co_u32_e32 v5, vcc, v5, v3, vcc
	v_cmp_le_i32_e32 vcc, s17, v2
	s_or_b64 s[8:9], vcc, s[8:9]
	s_waitcnt vmcnt(0)
	v_fmac_f32_e32 v1, v6, v6
	s_andn2_b64 exec, exec, s[8:9]
	s_cbranch_execnz .LBB0_11
; %bb.12:
	s_or_b64 exec, exec, s[8:9]
.LBB0_13:
	s_or_b64 exec, exec, s[10:11]
	s_branch .LBB0_20
.LBB0_14:
                                        ; implicit-def: $vgpr1
	s_cbranch_execz .LBB0_20
; %bb.15:
	s_ashr_i32 s10, s7, 4
	v_cmp_gt_i32_e32 vcc, s10, v0
	v_mov_b32_e32 v1, 0
	s_and_saveexec_b64 s[8:9], vcc
	s_cbranch_execz .LBB0_19
; %bb.16:
	s_add_u32 s0, s0, s2
	v_lshlrev_b32_e32 v1, 6, v0
	s_addc_u32 s1, s1, s3
	s_mov_b32 s11, 0
	v_mov_b32_e32 v3, s1
	v_add_co_u32_e32 v2, vcc, s0, v1
	v_addc_co_u32_e32 v3, vcc, 0, v3, vcc
	s_lshl_b32 s2, s16, 6
	s_mov_b64 s[0:1], 0
	v_mov_b32_e32 v1, 0
	v_mov_b32_e32 v4, s11
	;; [unrolled: 1-line block ×3, first 2 shown]
.LBB0_17:                               ; =>This Inner Loop Header: Depth=1
	global_load_dwordx4 v[6:9], v[2:3], off
	global_load_dwordx4 v[10:13], v[2:3], off offset:16
	global_load_dwordx4 v[14:17], v[2:3], off offset:32
	;; [unrolled: 1-line block ×3, first 2 shown]
	v_add_co_u32_e32 v2, vcc, s2, v2
	v_add_u32_e32 v5, s16, v5
	v_addc_co_u32_e32 v3, vcc, v3, v4, vcc
	v_cmp_le_i32_e32 vcc, s10, v5
	s_or_b64 s[0:1], vcc, s[0:1]
	s_waitcnt vmcnt(3)
	v_fmac_f32_e32 v1, v6, v6
	v_fmac_f32_e32 v1, v7, v7
	v_fmac_f32_e32 v1, v8, v8
	v_fmac_f32_e32 v1, v9, v9
	s_waitcnt vmcnt(2)
	v_fmac_f32_e32 v1, v10, v10
	v_fmac_f32_e32 v1, v11, v11
	v_fmac_f32_e32 v1, v12, v12
	v_fmac_f32_e32 v1, v13, v13
	;; [unrolled: 5-line block ×4, first 2 shown]
	s_andn2_b64 exec, exec, s[0:1]
	s_cbranch_execnz .LBB0_17
; %bb.18:
	s_or_b64 exec, exec, s[0:1]
.LBB0_19:
	s_or_b64 exec, exec, s[8:9]
.LBB0_20:
	v_mbcnt_lo_u32_b32 v2, -1, 0
	v_mbcnt_hi_u32_b32 v2, -1, v2
	v_and_b32_e32 v3, 63, v2
	v_cmp_ne_u32_e32 vcc, 63, v3
	v_addc_co_u32_e32 v4, vcc, 0, v2, vcc
	v_lshlrev_b32_e32 v4, 2, v4
	ds_bpermute_b32 v4, v4, v1
	v_and_b32_e32 v5, 0x3c0, v0
	v_sub_u32_e64 v5, s16, v5 clamp
	v_add_u32_e32 v6, 1, v2
	v_cmp_lt_u32_e32 vcc, v6, v5
	s_waitcnt lgkmcnt(0)
	v_add_f32_e32 v4, v1, v4
	v_cndmask_b32_e32 v1, v1, v4, vcc
	v_cmp_gt_u32_e32 vcc, 62, v3
	v_cndmask_b32_e64 v4, 0, 1, vcc
	v_lshlrev_b32_e32 v4, 1, v4
	v_add_lshl_u32 v4, v4, v2, 2
	ds_bpermute_b32 v4, v4, v1
	v_add_u32_e32 v6, 2, v2
	v_cmp_lt_u32_e32 vcc, v6, v5
	v_add_u32_e32 v6, 4, v2
	s_waitcnt lgkmcnt(0)
	v_add_f32_e32 v4, v1, v4
	v_cndmask_b32_e32 v1, v1, v4, vcc
	v_cmp_gt_u32_e32 vcc, 60, v3
	v_cndmask_b32_e64 v4, 0, 1, vcc
	v_lshlrev_b32_e32 v4, 2, v4
	v_add_lshl_u32 v4, v4, v2, 2
	ds_bpermute_b32 v4, v4, v1
	v_cmp_lt_u32_e32 vcc, v6, v5
	v_add_u32_e32 v6, 8, v2
	s_waitcnt lgkmcnt(0)
	v_add_f32_e32 v4, v1, v4
	v_cndmask_b32_e32 v1, v1, v4, vcc
	v_cmp_gt_u32_e32 vcc, 56, v3
	v_cndmask_b32_e64 v4, 0, 1, vcc
	v_lshlrev_b32_e32 v4, 3, v4
	v_add_lshl_u32 v4, v4, v2, 2
	ds_bpermute_b32 v4, v4, v1
	;; [unrolled: 10-line block ×3, first 2 shown]
	v_cmp_lt_u32_e32 vcc, v6, v5
	s_waitcnt lgkmcnt(0)
	v_add_f32_e32 v4, v1, v4
	v_cndmask_b32_e32 v1, v1, v4, vcc
	v_cmp_gt_u32_e32 vcc, 32, v3
	v_cndmask_b32_e64 v3, 0, 1, vcc
	v_lshlrev_b32_e32 v3, 5, v3
	v_add_lshl_u32 v3, v3, v2, 2
	ds_bpermute_b32 v3, v3, v1
	v_add_u32_e32 v4, 32, v2
	v_cmp_lt_u32_e32 vcc, v4, v5
	s_waitcnt lgkmcnt(0)
	v_add_f32_e32 v3, v1, v3
	v_cndmask_b32_e32 v1, v1, v3, vcc
	v_cmp_eq_u32_e32 vcc, 0, v2
	s_and_saveexec_b64 s[0:1], vcc
	s_cbranch_execz .LBB0_22
; %bb.21:
	v_lshrrev_b32_e32 v3, 4, v0
	v_and_b32_e32 v3, 60, v3
	ds_write_b32 v3, v1
.LBB0_22:
	s_or_b64 exec, exec, s[0:1]
	v_cmp_gt_u32_e32 vcc, 16, v0
	s_waitcnt lgkmcnt(0)
	s_barrier
	s_and_saveexec_b64 s[2:3], vcc
	s_cbranch_execz .LBB0_24
; %bb.23:
	v_lshlrev_b32_e32 v1, 2, v2
	ds_read_b32 v1, v1
	v_and_b32_e32 v3, 15, v2
	v_cmp_ne_u32_e32 vcc, 15, v3
	v_addc_co_u32_e32 v4, vcc, 0, v2, vcc
	v_lshlrev_b32_e32 v4, 2, v4
	s_waitcnt lgkmcnt(0)
	ds_bpermute_b32 v4, v4, v1
	s_add_i32 s0, s16, 63
	s_lshr_b32 s8, s0, 6
	v_add_u32_e32 v5, 1, v3
	v_cmp_gt_u32_e64 s[0:1], 14, v3
	v_cmp_gt_u32_e32 vcc, s8, v5
	v_cndmask_b32_e64 v5, 0, 1, s[0:1]
	s_waitcnt lgkmcnt(0)
	v_add_f32_e32 v4, v1, v4
	v_lshlrev_b32_e32 v5, 1, v5
	v_cndmask_b32_e32 v4, v1, v4, vcc
	v_add_lshl_u32 v5, v5, v2, 2
	ds_bpermute_b32 v5, v5, v4
	v_add_u32_e32 v6, 2, v3
	v_cmp_gt_u32_e64 s[0:1], s8, v6
	v_add_u32_e32 v6, 4, v3
	s_waitcnt lgkmcnt(0)
	v_add_f32_e32 v5, v4, v5
	v_cndmask_b32_e64 v4, v4, v5, s[0:1]
	v_cmp_gt_u32_e64 s[0:1], 12, v3
	v_cndmask_b32_e64 v5, 0, 1, s[0:1]
	v_lshlrev_b32_e32 v5, 2, v5
	v_add_lshl_u32 v5, v5, v2, 2
	ds_bpermute_b32 v5, v5, v4
	v_cmp_gt_u32_e64 s[0:1], s8, v6
	s_waitcnt lgkmcnt(0)
	v_add_f32_e32 v5, v4, v5
	v_cndmask_b32_e64 v4, v4, v5, s[0:1]
	v_cmp_gt_u32_e64 s[0:1], 8, v3
	v_cndmask_b32_e64 v5, 0, 1, s[0:1]
	v_lshlrev_b32_e32 v5, 3, v5
	v_add_lshl_u32 v2, v5, v2, 2
	ds_bpermute_b32 v2, v2, v4
	v_add_u32_e32 v3, 8, v3
	v_cmp_gt_u32_e64 s[0:1], s8, v3
	s_waitcnt lgkmcnt(0)
	v_add_f32_e32 v2, v4, v2
	v_cndmask_b32_e64 v2, v4, v2, s[0:1]
	v_cndmask_b32_e32 v1, v1, v2, vcc
.LBB0_24:
	s_or_b64 exec, exec, s[2:3]
	v_cmp_eq_u32_e32 vcc, 0, v0
	s_and_saveexec_b64 s[0:1], vcc
	s_cbranch_execz .LBB0_26
; %bb.25:
	v_cvt_f32_i32_e32 v2, s7
	s_load_dword s8, s[4:5], 0x40
	v_div_scale_f32 v3, s[2:3], v2, v2, v1
	v_rcp_f32_e32 v4, v3
	v_div_scale_f32 v5, vcc, v1, v2, v1
	s_mov_b32 s2, 0x800000
	v_fma_f32 v6, -v3, v4, 1.0
	v_fmac_f32_e32 v4, v6, v4
	v_mul_f32_e32 v6, v5, v4
	v_fma_f32 v7, -v3, v6, v5
	v_fmac_f32_e32 v6, v7, v4
	v_fma_f32 v3, -v3, v6, v5
	v_div_fmas_f32 v3, v3, v4, v6
	v_div_fixup_f32 v1, v3, v2, v1
	s_waitcnt lgkmcnt(0)
	v_add_f32_e32 v1, s8, v1
	v_mul_f32_e32 v2, 0x4b800000, v1
	v_cmp_gt_f32_e32 vcc, s2, v1
	v_cndmask_b32_e32 v1, v1, v2, vcc
	v_rsq_f32_e32 v1, v1
	v_mul_f32_e32 v2, 0x45800000, v1
	v_cndmask_b32_e32 v1, v1, v2, vcc
	v_mov_b32_e32 v2, 0
	ds_write_b32 v2, v1 offset:64
.LBB0_26:
	s_or_b64 exec, exec, s[0:1]
	s_ashr_i32 s0, s7, 31
	s_lshr_b32 s0, s0, 28
	s_add_i32 s0, s7, s0
	s_ashr_i32 s10, s0, 4
	v_cmp_gt_i32_e32 vcc, s10, v0
	s_waitcnt lgkmcnt(0)
	s_barrier
	s_and_saveexec_b64 s[0:1], vcc
	s_cbranch_execz .LBB0_36
; %bb.27:
	v_cvt_f32_u32_e32 v1, s16
	s_load_dwordx2 s[0:1], s[4:5], 0x0
	s_load_dwordx2 s[2:3], s[4:5], 0x38
	s_mul_i32 s4, s6, s7
	s_mov_b32 s5, 0
	v_rcp_iflag_f32_e32 v1, v1
	v_mov_b32_e32 v2, 0
	s_lshl_b64 s[4:5], s[4:5], 2
	ds_read_b32 v38, v2 offset:64
	v_mul_f32_e32 v1, 0x4f7ffffe, v1
	v_add_u32_e32 v2, s16, v0
	v_cvt_u32_f32_e32 v1, v1
	s_waitcnt lgkmcnt(0)
	s_add_u32 s11, s0, s4
	v_mov_b32_e32 v4, s16
	v_cmp_gt_i32_e32 vcc, s10, v2
	s_addc_u32 s12, s1, s5
	v_max_i32_e32 v3, s10, v2
	v_addc_co_u32_e64 v2, s[0:1], v0, v4, vcc
	s_sub_i32 s0, 0, s16
	v_sub_u32_e32 v2, v3, v2
	v_mul_lo_u32 v3, s0, v1
	v_mul_hi_u32 v3, v1, v3
	v_add_u32_e32 v1, v1, v3
	v_mul_hi_u32 v1, v2, v1
	v_mul_lo_u32 v3, v1, s16
	v_sub_u32_e32 v2, v2, v3
	v_add_u32_e32 v3, 1, v1
	v_cmp_le_u32_e64 s[0:1], s16, v2
	v_cndmask_b32_e64 v1, v1, v3, s[0:1]
	v_subrev_u32_e32 v3, s16, v2
	v_cndmask_b32_e64 v2, v2, v3, s[0:1]
	v_add_u32_e32 v3, 1, v1
	v_cmp_le_u32_e64 s[0:1], s16, v2
	v_cndmask_b32_e64 v1, v1, v3, s[0:1]
	v_addc_co_u32_e32 v72, vcc, 1, v1, vcc
	s_cmp_lg_u32 s16, 1
	v_cmp_gt_u32_e32 vcc, 2, v72
	s_cselect_b64 s[0:1], -1, 0
	s_or_b64 s[0:1], vcc, s[0:1]
	s_mov_b64 s[4:5], 0
	s_and_saveexec_b64 s[6:7], s[0:1]
	s_xor_b64 s[0:1], exec, s[6:7]
	s_cbranch_execnz .LBB0_30
; %bb.28:
	s_andn2_saveexec_b64 s[6:7], s[0:1]
	s_cbranch_execnz .LBB0_31
.LBB0_29:
	s_or_b64 exec, exec, s[6:7]
	s_and_b64 exec, exec, s[4:5]
	s_cbranch_execnz .LBB0_34
	s_branch .LBB0_36
.LBB0_30:
	s_mov_b64 s[4:5], exec
                                        ; implicit-def: $vgpr72
	s_andn2_saveexec_b64 s[6:7], s[0:1]
	s_cbranch_execz .LBB0_29
.LBB0_31:
	v_and_b32_e32 v73, -2, v72
	v_add_u32_e32 v1, 1, v0
	v_mov_b32_e32 v39, v38
	s_mov_b64 s[8:9], 0
	v_mov_b32_e32 v74, s15
	v_mov_b32_e32 v75, s3
	;; [unrolled: 1-line block ×5, first 2 shown]
	v_pk_mov_b32 v[42:43], v[0:1], v[0:1] op_sel:[0,1]
.LBB0_32:                               ; =>This Inner Loop Header: Depth=1
	v_mov_b32_e32 v40, v42
	v_lshlrev_b64 v[44:45], 6, v[40:41]
	v_add_co_u32_e32 v2, vcc, s14, v44
	v_addc_co_u32_e32 v3, vcc, v74, v45, vcc
	v_mov_b32_e32 v40, v43
	v_add_co_u32_e32 v4, vcc, s2, v44
	v_lshlrev_b64 v[46:47], 6, v[40:41]
	v_addc_co_u32_e32 v5, vcc, v75, v45, vcc
	v_add_co_u32_e32 v26, vcc, s14, v46
	global_load_dwordx4 v[14:17], v[2:3], off offset:16
	global_load_dwordx4 v[10:13], v[2:3], off
	v_addc_co_u32_e32 v27, vcc, v74, v47, vcc
	v_add_co_u32_e32 v48, vcc, s2, v46
	v_addc_co_u32_e32 v49, vcc, v75, v47, vcc
	global_load_dwordx4 v[22:25], v[4:5], off offset:16
	global_load_dwordx4 v[34:37], v[4:5], off
	global_load_dwordx4 v[66:69], v[2:3], off offset:48
	global_load_dwordx4 v[62:65], v[2:3], off offset:32
	;; [unrolled: 1-line block ×4, first 2 shown]
	global_load_dwordx4 v[28:31], v[26:27], off
	global_load_dwordx4 v[56:59], v[48:49], off
                                        ; kill: killed $vgpr4 killed $vgpr5
                                        ; kill: killed $vgpr2 killed $vgpr3
	global_load_dwordx4 v[18:21], v[26:27], off offset:16
	global_load_dwordx4 v[6:9], v[48:49], off offset:16
	v_add_u32_e32 v77, -2, v77
	v_cmp_eq_u32_e32 vcc, 0, v77
	v_add_co_u32_e64 v44, s[0:1], s11, v44
	v_add_u32_e32 v42, 2, v42
	v_add_u32_e32 v43, 2, v43
	v_addc_co_u32_e64 v45, s[0:1], v76, v45, s[0:1]
	s_or_b64 s[8:9], vcc, s[8:9]
	v_add_co_u32_e32 v46, vcc, s11, v46
	v_addc_co_u32_e32 v47, vcc, v76, v47, vcc
	s_waitcnt vmcnt(8)
	v_mov_b32_e32 v50, v34
	v_mov_b32_e32 v34, v36
	;; [unrolled: 1-line block ×5, first 2 shown]
	s_waitcnt vmcnt(3)
	v_mov_b32_e32 v53, v28
	v_mov_b32_e32 v28, v11
	;; [unrolled: 1-line block ×4, first 2 shown]
	s_waitcnt vmcnt(2)
	v_mov_b32_e32 v51, v56
	v_mov_b32_e32 v56, v35
	;; [unrolled: 1-line block ×4, first 2 shown]
	v_pk_mul_f32 v[2:3], v[28:29], v[38:39]
	v_pk_mul_f32 v[4:5], v[30:31], v[38:39]
	global_load_dwordx4 v[30:33], v[26:27], off offset:32
	s_nop 0
	global_load_dwordx4 v[26:29], v[26:27], off offset:48
	v_pk_mul_f32 v[2:3], v[2:3], v[56:57]
	v_pk_mul_f32 v[4:5], v[4:5], v[58:59]
	global_load_dwordx4 v[10:13], v[48:49], off offset:32
	v_mov_b32_e32 v58, v14
	v_mov_b32_e32 v56, v16
	s_waitcnt vmcnt(4)
	v_mov_b32_e32 v59, v18
	v_mov_b32_e32 v18, v15
	;; [unrolled: 1-line block ×4, first 2 shown]
	global_load_dwordx4 v[14:17], v[48:49], off offset:48
	v_mov_b32_e32 v22, v24
	s_waitcnt vmcnt(4)
	v_mov_b32_e32 v37, v6
	v_mov_b32_e32 v6, v23
	;; [unrolled: 1-line block ×8, first 2 shown]
	v_pk_mul_f32 v[52:53], v[52:53], v[38:39]
	v_pk_mul_f32 v[54:55], v[54:55], v[38:39]
	v_mov_b32_e32 v48, v78
	v_mov_b32_e32 v68, v80
	;; [unrolled: 1-line block ×4, first 2 shown]
	v_pk_mul_f32 v[18:19], v[18:19], v[38:39]
	v_pk_mul_f32 v[20:21], v[20:21], v[38:39]
	;; [unrolled: 1-line block ×10, first 2 shown]
	v_mov_b32_e32 v18, v50
	v_mov_b32_e32 v19, v2
	;; [unrolled: 1-line block ×9, first 2 shown]
	s_waitcnt vmcnt(3)
	v_mov_b32_e32 v61, v30
	v_mov_b32_e32 v30, v63
	v_mov_b32_e32 v25, v32
	v_mov_b32_e32 v32, v65
	s_waitcnt vmcnt(2)
	v_mov_b32_e32 v65, v26
	v_mov_b32_e32 v26, v67
	v_mov_b32_e32 v63, v28
	v_mov_b32_e32 v28, v69
	;; [unrolled: 5-line block ×4, first 2 shown]
	v_pk_mul_f32 v[30:31], v[30:31], v[38:39]
	v_pk_mul_f32 v[32:33], v[32:33], v[38:39]
	;; [unrolled: 1-line block ×16, first 2 shown]
	v_mov_b32_e32 v24, v52
	v_mov_b32_e32 v25, v8
	;; [unrolled: 1-line block ×15, first 2 shown]
	global_store_dwordx4 v[44:45], v[18:21], off
	global_store_dwordx4 v[46:47], v[2:5], off
	global_store_dwordx4 v[44:45], v[22:25], off offset:16
	global_store_dwordx4 v[46:47], v[6:9], off offset:16
	;; [unrolled: 1-line block ×6, first 2 shown]
	s_andn2_b64 exec, exec, s[8:9]
	s_cbranch_execnz .LBB0_32
; %bb.33:
	s_or_b64 exec, exec, s[8:9]
	v_cmp_ne_u32_e32 vcc, v72, v73
	s_andn2_b64 s[0:1], s[4:5], exec
	s_and_b64 s[4:5], vcc, exec
	v_add_u32_e32 v0, v0, v73
	s_or_b64 s[4:5], s[0:1], s[4:5]
	s_or_b64 exec, exec, s[6:7]
	s_and_b64 exec, exec, s[4:5]
	s_cbranch_execz .LBB0_36
.LBB0_34:
	v_mov_b32_e32 v1, 0
	v_mov_b32_e32 v39, v38
	v_lshlrev_b64 v[2:3], 6, v[0:1]
	s_lshl_b32 s6, s16, 6
	s_mov_b64 s[4:5], 0
.LBB0_35:                               ; =>This Inner Loop Header: Depth=1
	v_mov_b32_e32 v1, s15
	v_add_co_u32_e64 v40, s[0:1], s14, v2
	v_mov_b32_e32 v4, s3
	v_add_co_u32_e32 v36, vcc, s2, v2
	v_addc_co_u32_e64 v41, s[0:1], v1, v3, s[0:1]
	v_addc_co_u32_e32 v37, vcc, v4, v3, vcc
	global_load_dwordx4 v[4:7], v[40:41], off
	global_load_dwordx4 v[8:11], v[40:41], off offset:16
	global_load_dwordx4 v[12:15], v[40:41], off offset:32
	;; [unrolled: 1-line block ×3, first 2 shown]
	global_load_dwordx4 v[20:23], v[36:37], off
	global_load_dwordx4 v[24:27], v[36:37], off offset:16
	global_load_dwordx4 v[28:31], v[36:37], off offset:32
	;; [unrolled: 1-line block ×3, first 2 shown]
	v_add_co_u32_e32 v36, vcc, s11, v2
	s_add_u32 s11, s11, s6
	v_mov_b32_e32 v1, s12
	s_addc_u32 s12, s12, 0
	s_add_u32 s14, s14, s6
	s_addc_u32 s15, s15, 0
	v_add_u32_e32 v0, s16, v0
	v_addc_co_u32_e32 v37, vcc, v1, v3, vcc
	s_add_u32 s2, s2, s6
	v_cmp_le_i32_e32 vcc, s10, v0
	s_addc_u32 s3, s3, 0
	s_or_b64 s[4:5], vcc, s[4:5]
	s_waitcnt vmcnt(7)
	v_pk_mul_f32 v[4:5], v[4:5], v[38:39]
	v_pk_mul_f32 v[6:7], v[6:7], v[38:39]
	s_waitcnt vmcnt(6)
	v_pk_mul_f32 v[8:9], v[8:9], v[38:39]
	v_pk_mul_f32 v[10:11], v[10:11], v[38:39]
	s_waitcnt vmcnt(5)
	v_pk_mul_f32 v[12:13], v[12:13], v[38:39]
	v_pk_mul_f32 v[14:15], v[14:15], v[38:39]
	s_waitcnt vmcnt(4)
	v_pk_mul_f32 v[16:17], v[16:17], v[38:39]
	v_pk_mul_f32 v[18:19], v[18:19], v[38:39]
	s_waitcnt vmcnt(3)
	v_pk_mul_f32 v[4:5], v[4:5], v[20:21]
	v_pk_mul_f32 v[6:7], v[6:7], v[22:23]
	s_waitcnt vmcnt(2)
	v_pk_mul_f32 v[8:9], v[8:9], v[24:25]
	v_pk_mul_f32 v[10:11], v[10:11], v[26:27]
	s_waitcnt vmcnt(1)
	v_pk_mul_f32 v[12:13], v[12:13], v[28:29]
	v_pk_mul_f32 v[14:15], v[14:15], v[30:31]
	s_waitcnt vmcnt(0)
	v_pk_mul_f32 v[16:17], v[16:17], v[32:33]
	v_pk_mul_f32 v[18:19], v[18:19], v[34:35]
	global_store_dwordx4 v[36:37], v[4:7], off
	global_store_dwordx4 v[36:37], v[8:11], off offset:16
	global_store_dwordx4 v[36:37], v[12:15], off offset:32
	;; [unrolled: 1-line block ×3, first 2 shown]
	s_andn2_b64 exec, exec, s[4:5]
	s_cbranch_execnz .LBB0_35
.LBB0_36:
	s_endpgm
	.section	.rodata,"a",@progbits
	.p2align	6, 0x0
	.amdhsa_kernel _ZN4vllm15rms_norm_kernelIfLi16ELi2EEEvPT_PKS1_lllllS4_fii
		.amdhsa_group_segment_fixed_size 68
		.amdhsa_private_segment_fixed_size 0
		.amdhsa_kernarg_size 336
		.amdhsa_user_sgpr_count 6
		.amdhsa_user_sgpr_private_segment_buffer 1
		.amdhsa_user_sgpr_dispatch_ptr 0
		.amdhsa_user_sgpr_queue_ptr 0
		.amdhsa_user_sgpr_kernarg_segment_ptr 1
		.amdhsa_user_sgpr_dispatch_id 0
		.amdhsa_user_sgpr_flat_scratch_init 0
		.amdhsa_user_sgpr_kernarg_preload_length 0
		.amdhsa_user_sgpr_kernarg_preload_offset 0
		.amdhsa_user_sgpr_private_segment_size 0
		.amdhsa_uses_dynamic_stack 0
		.amdhsa_system_sgpr_private_segment_wavefront_offset 0
		.amdhsa_system_sgpr_workgroup_id_x 1
		.amdhsa_system_sgpr_workgroup_id_y 0
		.amdhsa_system_sgpr_workgroup_id_z 0
		.amdhsa_system_sgpr_workgroup_info 0
		.amdhsa_system_vgpr_workitem_id 0
		.amdhsa_next_free_vgpr 86
		.amdhsa_next_free_sgpr 21
		.amdhsa_accum_offset 88
		.amdhsa_reserve_vcc 1
		.amdhsa_reserve_flat_scratch 0
		.amdhsa_float_round_mode_32 0
		.amdhsa_float_round_mode_16_64 0
		.amdhsa_float_denorm_mode_32 3
		.amdhsa_float_denorm_mode_16_64 3
		.amdhsa_dx10_clamp 1
		.amdhsa_ieee_mode 1
		.amdhsa_fp16_overflow 0
		.amdhsa_tg_split 0
		.amdhsa_exception_fp_ieee_invalid_op 0
		.amdhsa_exception_fp_denorm_src 0
		.amdhsa_exception_fp_ieee_div_zero 0
		.amdhsa_exception_fp_ieee_overflow 0
		.amdhsa_exception_fp_ieee_underflow 0
		.amdhsa_exception_fp_ieee_inexact 0
		.amdhsa_exception_int_div_zero 0
	.end_amdhsa_kernel
	.section	.text._ZN4vllm15rms_norm_kernelIfLi16ELi2EEEvPT_PKS1_lllllS4_fii,"axG",@progbits,_ZN4vllm15rms_norm_kernelIfLi16ELi2EEEvPT_PKS1_lllllS4_fii,comdat
.Lfunc_end0:
	.size	_ZN4vllm15rms_norm_kernelIfLi16ELi2EEEvPT_PKS1_lllllS4_fii, .Lfunc_end0-_ZN4vllm15rms_norm_kernelIfLi16ELi2EEEvPT_PKS1_lllllS4_fii
                                        ; -- End function
	.section	.AMDGPU.csdata,"",@progbits
; Kernel info:
; codeLenInByte = 3288
; NumSgprs: 25
; NumVgprs: 86
; NumAgprs: 0
; TotalNumVgprs: 86
; ScratchSize: 0
; MemoryBound: 0
; FloatMode: 240
; IeeeMode: 1
; LDSByteSize: 68 bytes/workgroup (compile time only)
; SGPRBlocks: 3
; VGPRBlocks: 10
; NumSGPRsForWavesPerEU: 25
; NumVGPRsForWavesPerEU: 86
; AccumOffset: 88
; Occupancy: 5
; WaveLimiterHint : 0
; COMPUTE_PGM_RSRC2:SCRATCH_EN: 0
; COMPUTE_PGM_RSRC2:USER_SGPR: 6
; COMPUTE_PGM_RSRC2:TRAP_HANDLER: 0
; COMPUTE_PGM_RSRC2:TGID_X_EN: 1
; COMPUTE_PGM_RSRC2:TGID_Y_EN: 0
; COMPUTE_PGM_RSRC2:TGID_Z_EN: 0
; COMPUTE_PGM_RSRC2:TIDIG_COMP_CNT: 0
; COMPUTE_PGM_RSRC3_GFX90A:ACCUM_OFFSET: 21
; COMPUTE_PGM_RSRC3_GFX90A:TG_SPLIT: 0
	.section	.text._ZN4vllm15rms_norm_kernelIfLi8ELi2EEEvPT_PKS1_lllllS4_fii,"axG",@progbits,_ZN4vllm15rms_norm_kernelIfLi8ELi2EEEvPT_PKS1_lllllS4_fii,comdat
	.protected	_ZN4vllm15rms_norm_kernelIfLi8ELi2EEEvPT_PKS1_lllllS4_fii ; -- Begin function _ZN4vllm15rms_norm_kernelIfLi8ELi2EEEvPT_PKS1_lllllS4_fii
	.globl	_ZN4vllm15rms_norm_kernelIfLi8ELi2EEEvPT_PKS1_lllllS4_fii
	.p2align	8
	.type	_ZN4vllm15rms_norm_kernelIfLi8ELi2EEEvPT_PKS1_lllllS4_fii,@function
_ZN4vllm15rms_norm_kernelIfLi8ELi2EEEvPT_PKS1_lllllS4_fii: ; @_ZN4vllm15rms_norm_kernelIfLi8ELi2EEEvPT_PKS1_lllllS4_fii
; %bb.0:
	s_load_dwordx4 s[0:3], s[4:5], 0x8
	s_load_dword s7, s[4:5], 0x48
	s_load_dword s8, s[4:5], 0x5c
	s_waitcnt lgkmcnt(0)
	s_mul_i32 s3, s6, s3
	s_mul_hi_u32 s9, s6, s2
	s_add_i32 s3, s9, s3
	s_mul_i32 s2, s6, s2
	s_lshl_b64 s[2:3], s[2:3], 2
	s_add_u32 s14, s0, s2
	s_addc_u32 s15, s1, s3
	s_and_b32 s16, s8, 0xffff
	s_and_b32 s8, s14, 31
	s_mov_b32 s9, 0
	s_cmp_lg_u64 s[8:9], 0
	s_cselect_b64 s[8:9], -1, 0
	s_and_b32 s10, s7, 7
	s_cmp_lg_u32 s10, 0
	s_cselect_b64 s[10:11], -1, 0
	s_or_b64 s[8:9], s[8:9], s[10:11]
	s_and_b64 vcc, exec, s[8:9]
	s_cbranch_vccz .LBB1_14
; %bb.1:
	s_sub_i32 s8, 0, s14
	s_bfe_u32 s8, s8, 0x30002
	s_min_i32 s8, s8, s7
	v_cmp_gt_i32_e32 vcc, s8, v0
	v_mov_b32_e32 v1, 0
	s_and_saveexec_b64 s[10:11], vcc
	s_cbranch_execz .LBB1_5
; %bb.2:
	s_add_u32 s9, s0, s2
	v_lshlrev_b32_e32 v1, 2, v0
	s_addc_u32 s12, s1, s3
	s_mov_b32 s17, 0
	v_mov_b32_e32 v3, s12
	v_add_co_u32_e32 v2, vcc, s9, v1
	v_addc_co_u32_e32 v3, vcc, 0, v3, vcc
	s_lshl_b32 s9, s16, 2
	s_mov_b64 s[12:13], 0
	v_mov_b32_e32 v1, 0
	v_mov_b32_e32 v4, s17
	;; [unrolled: 1-line block ×3, first 2 shown]
.LBB1_3:                                ; =>This Inner Loop Header: Depth=1
	global_load_dword v6, v[2:3], off
	v_add_co_u32_e32 v2, vcc, s9, v2
	v_add_u32_e32 v5, s16, v5
	v_addc_co_u32_e32 v3, vcc, v3, v4, vcc
	v_cmp_le_i32_e32 vcc, s8, v5
	s_or_b64 s[12:13], vcc, s[12:13]
	s_waitcnt vmcnt(0)
	v_fmac_f32_e32 v1, v6, v6
	s_andn2_b64 exec, exec, s[12:13]
	s_cbranch_execnz .LBB1_3
; %bb.4:
	s_or_b64 exec, exec, s[12:13]
.LBB1_5:
	s_or_b64 exec, exec, s[10:11]
	s_sub_i32 s17, s7, s8
	s_ashr_i32 s10, s17, 31
	s_lshr_b32 s10, s10, 29
	s_add_i32 s10, s17, s10
	s_ashr_i32 s18, s10, 3
	s_ashr_i32 s9, s8, 31
	v_cmp_gt_i32_e32 vcc, s18, v0
	s_and_saveexec_b64 s[10:11], vcc
	s_cbranch_execz .LBB1_9
; %bb.6:
	s_lshl_b64 s[12:13], s[8:9], 2
	s_add_u32 s12, s0, s12
	s_addc_u32 s13, s1, s13
	s_add_u32 s12, s12, s2
	v_lshlrev_b32_e32 v2, 5, v0
	s_addc_u32 s13, s13, s3
	s_mov_b32 s20, 0
	v_mov_b32_e32 v3, s13
	v_add_co_u32_e32 v2, vcc, s12, v2
	v_addc_co_u32_e32 v3, vcc, 0, v3, vcc
	s_lshl_b32 s19, s16, 5
	s_mov_b64 s[12:13], 0
	v_mov_b32_e32 v4, s20
	v_mov_b32_e32 v5, v0
.LBB1_7:                                ; =>This Inner Loop Header: Depth=1
	global_load_dwordx4 v[6:9], v[2:3], off
	global_load_dwordx4 v[10:13], v[2:3], off offset:16
	v_add_co_u32_e32 v2, vcc, s19, v2
	v_add_u32_e32 v5, s16, v5
	v_addc_co_u32_e32 v3, vcc, v3, v4, vcc
	v_cmp_le_i32_e32 vcc, s18, v5
	s_or_b64 s[12:13], vcc, s[12:13]
	s_waitcnt vmcnt(1)
	v_fmac_f32_e32 v1, v6, v6
	v_fmac_f32_e32 v1, v7, v7
	;; [unrolled: 1-line block ×4, first 2 shown]
	s_waitcnt vmcnt(0)
	v_fmac_f32_e32 v1, v10, v10
	v_fmac_f32_e32 v1, v11, v11
	;; [unrolled: 1-line block ×4, first 2 shown]
	s_andn2_b64 exec, exec, s[12:13]
	s_cbranch_execnz .LBB1_7
; %bb.8:
	s_or_b64 exec, exec, s[12:13]
.LBB1_9:
	s_or_b64 exec, exec, s[10:11]
	v_lshl_add_u32 v2, s18, 3, v0
	v_cmp_gt_i32_e32 vcc, s17, v2
	s_and_saveexec_b64 s[10:11], vcc
	s_cbranch_execz .LBB1_13
; %bb.10:
	s_lshl_b64 s[8:9], s[8:9], 2
	s_add_u32 s8, s2, s8
	s_addc_u32 s9, s3, s9
	v_ashrrev_i32_e32 v3, 31, v2
	s_add_u32 s8, s0, s8
	v_lshlrev_b64 v[4:5], 2, v[2:3]
	s_addc_u32 s9, s1, s9
	v_mov_b32_e32 v3, s9
	v_add_co_u32_e32 v4, vcc, s8, v4
	s_mov_b32 s13, 0
	v_addc_co_u32_e32 v5, vcc, v3, v5, vcc
	s_lshl_b32 s12, s16, 2
	s_mov_b64 s[8:9], 0
	v_mov_b32_e32 v3, s13
.LBB1_11:                               ; =>This Inner Loop Header: Depth=1
	global_load_dword v6, v[4:5], off
	v_add_co_u32_e32 v4, vcc, s12, v4
	v_add_u32_e32 v2, s16, v2
	v_addc_co_u32_e32 v5, vcc, v5, v3, vcc
	v_cmp_le_i32_e32 vcc, s17, v2
	s_or_b64 s[8:9], vcc, s[8:9]
	s_waitcnt vmcnt(0)
	v_fmac_f32_e32 v1, v6, v6
	s_andn2_b64 exec, exec, s[8:9]
	s_cbranch_execnz .LBB1_11
; %bb.12:
	s_or_b64 exec, exec, s[8:9]
.LBB1_13:
	s_or_b64 exec, exec, s[10:11]
	s_branch .LBB1_20
.LBB1_14:
                                        ; implicit-def: $vgpr1
	s_cbranch_execz .LBB1_20
; %bb.15:
	s_ashr_i32 s10, s7, 3
	v_cmp_gt_i32_e32 vcc, s10, v0
	v_mov_b32_e32 v1, 0
	s_and_saveexec_b64 s[8:9], vcc
	s_cbranch_execz .LBB1_19
; %bb.16:
	s_add_u32 s0, s0, s2
	v_lshlrev_b32_e32 v1, 5, v0
	s_addc_u32 s1, s1, s3
	s_mov_b32 s11, 0
	v_mov_b32_e32 v3, s1
	v_add_co_u32_e32 v2, vcc, s0, v1
	v_addc_co_u32_e32 v3, vcc, 0, v3, vcc
	s_lshl_b32 s2, s16, 5
	s_mov_b64 s[0:1], 0
	v_mov_b32_e32 v1, 0
	v_mov_b32_e32 v4, s11
	;; [unrolled: 1-line block ×3, first 2 shown]
.LBB1_17:                               ; =>This Inner Loop Header: Depth=1
	global_load_dwordx4 v[6:9], v[2:3], off
	global_load_dwordx4 v[10:13], v[2:3], off offset:16
	v_add_co_u32_e32 v2, vcc, s2, v2
	v_add_u32_e32 v5, s16, v5
	v_addc_co_u32_e32 v3, vcc, v3, v4, vcc
	v_cmp_le_i32_e32 vcc, s10, v5
	s_or_b64 s[0:1], vcc, s[0:1]
	s_waitcnt vmcnt(1)
	v_fmac_f32_e32 v1, v6, v6
	v_fmac_f32_e32 v1, v7, v7
	;; [unrolled: 1-line block ×4, first 2 shown]
	s_waitcnt vmcnt(0)
	v_fmac_f32_e32 v1, v10, v10
	v_fmac_f32_e32 v1, v11, v11
	;; [unrolled: 1-line block ×4, first 2 shown]
	s_andn2_b64 exec, exec, s[0:1]
	s_cbranch_execnz .LBB1_17
; %bb.18:
	s_or_b64 exec, exec, s[0:1]
.LBB1_19:
	s_or_b64 exec, exec, s[8:9]
.LBB1_20:
	v_mbcnt_lo_u32_b32 v2, -1, 0
	v_mbcnt_hi_u32_b32 v2, -1, v2
	v_and_b32_e32 v3, 63, v2
	v_cmp_ne_u32_e32 vcc, 63, v3
	v_addc_co_u32_e32 v4, vcc, 0, v2, vcc
	v_lshlrev_b32_e32 v4, 2, v4
	ds_bpermute_b32 v4, v4, v1
	v_and_b32_e32 v5, 0x3c0, v0
	v_sub_u32_e64 v5, s16, v5 clamp
	v_add_u32_e32 v6, 1, v2
	v_cmp_lt_u32_e32 vcc, v6, v5
	s_waitcnt lgkmcnt(0)
	v_add_f32_e32 v4, v1, v4
	v_cndmask_b32_e32 v1, v1, v4, vcc
	v_cmp_gt_u32_e32 vcc, 62, v3
	v_cndmask_b32_e64 v4, 0, 1, vcc
	v_lshlrev_b32_e32 v4, 1, v4
	v_add_lshl_u32 v4, v4, v2, 2
	ds_bpermute_b32 v4, v4, v1
	v_add_u32_e32 v6, 2, v2
	v_cmp_lt_u32_e32 vcc, v6, v5
	v_add_u32_e32 v6, 4, v2
	s_waitcnt lgkmcnt(0)
	v_add_f32_e32 v4, v1, v4
	v_cndmask_b32_e32 v1, v1, v4, vcc
	v_cmp_gt_u32_e32 vcc, 60, v3
	v_cndmask_b32_e64 v4, 0, 1, vcc
	v_lshlrev_b32_e32 v4, 2, v4
	v_add_lshl_u32 v4, v4, v2, 2
	ds_bpermute_b32 v4, v4, v1
	v_cmp_lt_u32_e32 vcc, v6, v5
	v_add_u32_e32 v6, 8, v2
	s_waitcnt lgkmcnt(0)
	v_add_f32_e32 v4, v1, v4
	v_cndmask_b32_e32 v1, v1, v4, vcc
	v_cmp_gt_u32_e32 vcc, 56, v3
	v_cndmask_b32_e64 v4, 0, 1, vcc
	v_lshlrev_b32_e32 v4, 3, v4
	v_add_lshl_u32 v4, v4, v2, 2
	ds_bpermute_b32 v4, v4, v1
	;; [unrolled: 10-line block ×3, first 2 shown]
	v_cmp_lt_u32_e32 vcc, v6, v5
	s_waitcnt lgkmcnt(0)
	v_add_f32_e32 v4, v1, v4
	v_cndmask_b32_e32 v1, v1, v4, vcc
	v_cmp_gt_u32_e32 vcc, 32, v3
	v_cndmask_b32_e64 v3, 0, 1, vcc
	v_lshlrev_b32_e32 v3, 5, v3
	v_add_lshl_u32 v3, v3, v2, 2
	ds_bpermute_b32 v3, v3, v1
	v_add_u32_e32 v4, 32, v2
	v_cmp_lt_u32_e32 vcc, v4, v5
	s_waitcnt lgkmcnt(0)
	v_add_f32_e32 v3, v1, v3
	v_cndmask_b32_e32 v1, v1, v3, vcc
	v_cmp_eq_u32_e32 vcc, 0, v2
	s_and_saveexec_b64 s[0:1], vcc
	s_cbranch_execz .LBB1_22
; %bb.21:
	v_lshrrev_b32_e32 v3, 4, v0
	v_and_b32_e32 v3, 60, v3
	ds_write_b32 v3, v1
.LBB1_22:
	s_or_b64 exec, exec, s[0:1]
	v_cmp_gt_u32_e32 vcc, 16, v0
	s_waitcnt lgkmcnt(0)
	s_barrier
	s_and_saveexec_b64 s[2:3], vcc
	s_cbranch_execz .LBB1_24
; %bb.23:
	v_lshlrev_b32_e32 v1, 2, v2
	ds_read_b32 v1, v1
	v_and_b32_e32 v3, 15, v2
	v_cmp_ne_u32_e32 vcc, 15, v3
	v_addc_co_u32_e32 v4, vcc, 0, v2, vcc
	v_lshlrev_b32_e32 v4, 2, v4
	s_waitcnt lgkmcnt(0)
	ds_bpermute_b32 v4, v4, v1
	s_add_i32 s0, s16, 63
	s_lshr_b32 s8, s0, 6
	v_add_u32_e32 v5, 1, v3
	v_cmp_gt_u32_e64 s[0:1], 14, v3
	v_cmp_gt_u32_e32 vcc, s8, v5
	v_cndmask_b32_e64 v5, 0, 1, s[0:1]
	s_waitcnt lgkmcnt(0)
	v_add_f32_e32 v4, v1, v4
	v_lshlrev_b32_e32 v5, 1, v5
	v_cndmask_b32_e32 v4, v1, v4, vcc
	v_add_lshl_u32 v5, v5, v2, 2
	ds_bpermute_b32 v5, v5, v4
	v_add_u32_e32 v6, 2, v3
	v_cmp_gt_u32_e64 s[0:1], s8, v6
	v_add_u32_e32 v6, 4, v3
	s_waitcnt lgkmcnt(0)
	v_add_f32_e32 v5, v4, v5
	v_cndmask_b32_e64 v4, v4, v5, s[0:1]
	v_cmp_gt_u32_e64 s[0:1], 12, v3
	v_cndmask_b32_e64 v5, 0, 1, s[0:1]
	v_lshlrev_b32_e32 v5, 2, v5
	v_add_lshl_u32 v5, v5, v2, 2
	ds_bpermute_b32 v5, v5, v4
	v_cmp_gt_u32_e64 s[0:1], s8, v6
	s_waitcnt lgkmcnt(0)
	v_add_f32_e32 v5, v4, v5
	v_cndmask_b32_e64 v4, v4, v5, s[0:1]
	v_cmp_gt_u32_e64 s[0:1], 8, v3
	v_cndmask_b32_e64 v5, 0, 1, s[0:1]
	v_lshlrev_b32_e32 v5, 3, v5
	v_add_lshl_u32 v2, v5, v2, 2
	ds_bpermute_b32 v2, v2, v4
	v_add_u32_e32 v3, 8, v3
	v_cmp_gt_u32_e64 s[0:1], s8, v3
	s_waitcnt lgkmcnt(0)
	v_add_f32_e32 v2, v4, v2
	v_cndmask_b32_e64 v2, v4, v2, s[0:1]
	v_cndmask_b32_e32 v1, v1, v2, vcc
.LBB1_24:
	s_or_b64 exec, exec, s[2:3]
	v_cmp_eq_u32_e32 vcc, 0, v0
	s_and_saveexec_b64 s[0:1], vcc
	s_cbranch_execz .LBB1_26
; %bb.25:
	v_cvt_f32_i32_e32 v2, s7
	s_load_dword s8, s[4:5], 0x40
	v_div_scale_f32 v3, s[2:3], v2, v2, v1
	v_rcp_f32_e32 v4, v3
	v_div_scale_f32 v5, vcc, v1, v2, v1
	s_mov_b32 s2, 0x800000
	v_fma_f32 v6, -v3, v4, 1.0
	v_fmac_f32_e32 v4, v6, v4
	v_mul_f32_e32 v6, v5, v4
	v_fma_f32 v7, -v3, v6, v5
	v_fmac_f32_e32 v6, v7, v4
	v_fma_f32 v3, -v3, v6, v5
	v_div_fmas_f32 v3, v3, v4, v6
	v_div_fixup_f32 v1, v3, v2, v1
	s_waitcnt lgkmcnt(0)
	v_add_f32_e32 v1, s8, v1
	v_mul_f32_e32 v2, 0x4b800000, v1
	v_cmp_gt_f32_e32 vcc, s2, v1
	v_cndmask_b32_e32 v1, v1, v2, vcc
	v_rsq_f32_e32 v1, v1
	v_mul_f32_e32 v2, 0x45800000, v1
	v_cndmask_b32_e32 v1, v1, v2, vcc
	v_mov_b32_e32 v2, 0
	ds_write_b32 v2, v1 offset:64
.LBB1_26:
	s_or_b64 exec, exec, s[0:1]
	s_ashr_i32 s0, s7, 31
	s_lshr_b32 s0, s0, 29
	s_add_i32 s0, s7, s0
	s_ashr_i32 s10, s0, 3
	v_cmp_gt_i32_e32 vcc, s10, v0
	s_waitcnt lgkmcnt(0)
	s_barrier
	s_and_saveexec_b64 s[0:1], vcc
	s_cbranch_execz .LBB1_36
; %bb.27:
	v_cvt_f32_u32_e32 v1, s16
	s_load_dwordx2 s[0:1], s[4:5], 0x0
	s_load_dwordx2 s[2:3], s[4:5], 0x38
	s_mul_i32 s4, s6, s7
	s_mov_b32 s5, 0
	v_rcp_iflag_f32_e32 v1, v1
	v_mov_b32_e32 v2, 0
	s_lshl_b64 s[4:5], s[4:5], 2
	ds_read_b32 v34, v2 offset:64
	v_mul_f32_e32 v1, 0x4f7ffffe, v1
	v_add_u32_e32 v2, s16, v0
	v_cvt_u32_f32_e32 v1, v1
	s_waitcnt lgkmcnt(0)
	s_add_u32 s11, s0, s4
	v_mov_b32_e32 v4, s16
	v_cmp_gt_i32_e32 vcc, s10, v2
	s_addc_u32 s12, s1, s5
	v_max_i32_e32 v3, s10, v2
	v_addc_co_u32_e64 v2, s[0:1], v0, v4, vcc
	s_sub_i32 s0, 0, s16
	v_sub_u32_e32 v2, v3, v2
	v_mul_lo_u32 v3, s0, v1
	v_mul_hi_u32 v3, v1, v3
	v_add_u32_e32 v1, v1, v3
	v_mul_hi_u32 v1, v2, v1
	v_mul_lo_u32 v3, v1, s16
	v_sub_u32_e32 v2, v2, v3
	v_add_u32_e32 v3, 1, v1
	v_cmp_le_u32_e64 s[0:1], s16, v2
	v_cndmask_b32_e64 v1, v1, v3, s[0:1]
	v_subrev_u32_e32 v3, s16, v2
	v_cndmask_b32_e64 v2, v2, v3, s[0:1]
	v_add_u32_e32 v3, 1, v1
	v_cmp_le_u32_e64 s[0:1], s16, v2
	v_cndmask_b32_e64 v1, v1, v3, s[0:1]
	v_addc_co_u32_e32 v44, vcc, 1, v1, vcc
	s_cmp_lg_u32 s16, 1
	v_cmp_gt_u32_e32 vcc, 2, v44
	s_cselect_b64 s[0:1], -1, 0
	s_or_b64 s[0:1], vcc, s[0:1]
	s_mov_b64 s[4:5], 0
	s_and_saveexec_b64 s[6:7], s[0:1]
	s_xor_b64 s[0:1], exec, s[6:7]
	s_cbranch_execnz .LBB1_30
; %bb.28:
	s_andn2_saveexec_b64 s[6:7], s[0:1]
	s_cbranch_execnz .LBB1_31
.LBB1_29:
	s_or_b64 exec, exec, s[6:7]
	s_and_b64 exec, exec, s[4:5]
	s_cbranch_execnz .LBB1_34
	s_branch .LBB1_36
.LBB1_30:
	s_mov_b64 s[4:5], exec
                                        ; implicit-def: $vgpr44
	s_andn2_saveexec_b64 s[6:7], s[0:1]
	s_cbranch_execz .LBB1_29
.LBB1_31:
	v_and_b32_e32 v45, -2, v44
	v_add_u32_e32 v1, 1, v0
	v_mov_b32_e32 v35, v34
	s_mov_b64 s[8:9], 0
	v_mov_b32_e32 v46, s15
	v_mov_b32_e32 v47, s3
	;; [unrolled: 1-line block ×5, first 2 shown]
	v_pk_mov_b32 v[38:39], v[0:1], v[0:1] op_sel:[0,1]
.LBB1_32:                               ; =>This Inner Loop Header: Depth=1
	v_mov_b32_e32 v36, v38
	v_lshlrev_b64 v[40:41], 5, v[36:37]
	v_add_co_u32_e32 v10, vcc, s14, v40
	v_addc_co_u32_e32 v11, vcc, v46, v41, vcc
	v_mov_b32_e32 v36, v39
	v_add_co_u32_e32 v12, vcc, s2, v40
	v_lshlrev_b64 v[42:43], 5, v[36:37]
	v_addc_co_u32_e32 v13, vcc, v47, v41, vcc
	v_add_co_u32_e32 v50, vcc, s14, v42
	v_addc_co_u32_e32 v51, vcc, v46, v43, vcc
	v_add_co_u32_e32 v52, vcc, s2, v42
	global_load_dwordx4 v[2:5], v[10:11], off offset:16
	global_load_dwordx4 v[14:17], v[10:11], off
	global_load_dwordx4 v[6:9], v[12:13], off offset:16
	global_load_dwordx4 v[26:29], v[12:13], off
	v_addc_co_u32_e32 v53, vcc, v47, v43, vcc
	global_load_dwordx4 v[18:21], v[50:51], off
	global_load_dwordx4 v[10:13], v[50:51], off offset:16
	global_load_dwordx4 v[30:33], v[52:53], off
	global_load_dwordx4 v[22:25], v[52:53], off offset:16
	v_add_u32_e32 v49, -2, v49
	v_cmp_eq_u32_e32 vcc, 0, v49
	v_add_co_u32_e64 v40, s[0:1], s11, v40
	v_add_u32_e32 v38, 2, v38
	v_add_u32_e32 v39, 2, v39
	v_addc_co_u32_e64 v41, s[0:1], v48, v41, s[0:1]
	s_or_b64 s[8:9], vcc, s[8:9]
	v_add_co_u32_e32 v42, vcc, s11, v42
	v_addc_co_u32_e32 v43, vcc, v48, v43, vcc
	s_waitcnt vmcnt(6)
	v_mov_b32_e32 v50, v14
	v_mov_b32_e32 v14, v16
	s_waitcnt vmcnt(3)
	v_mov_b32_e32 v51, v18
	v_mov_b32_e32 v18, v15
	;; [unrolled: 1-line block ×10, first 2 shown]
	s_waitcnt vmcnt(2)
	v_mov_b32_e32 v17, v10
	v_mov_b32_e32 v10, v3
	v_mov_b32_e32 v3, v12
	v_mov_b32_e32 v12, v5
	s_waitcnt vmcnt(1)
	v_mov_b32_e32 v5, v30
	v_mov_b32_e32 v30, v27
	v_mov_b32_e32 v27, v32
	v_mov_b32_e32 v32, v29
	;; [unrolled: 5-line block ×3, first 2 shown]
	v_pk_mul_f32 v[6:7], v[50:51], v[34:35]
	v_pk_mul_f32 v[8:9], v[18:19], v[34:35]
	;; [unrolled: 1-line block ×16, first 2 shown]
	v_mov_b32_e32 v10, v50
	v_mov_b32_e32 v11, v2
	;; [unrolled: 1-line block ×12, first 2 shown]
	global_store_dwordx4 v[40:41], v[10:13], off
	global_store_dwordx4 v[42:43], v[2:5], off
	global_store_dwordx4 v[40:41], v[14:17], off offset:16
	global_store_dwordx4 v[42:43], v[6:9], off offset:16
	s_andn2_b64 exec, exec, s[8:9]
	s_cbranch_execnz .LBB1_32
; %bb.33:
	s_or_b64 exec, exec, s[8:9]
	v_cmp_ne_u32_e32 vcc, v44, v45
	s_andn2_b64 s[0:1], s[4:5], exec
	s_and_b64 s[4:5], vcc, exec
	v_add_u32_e32 v0, v0, v45
	s_or_b64 s[4:5], s[0:1], s[4:5]
	s_or_b64 exec, exec, s[6:7]
	s_and_b64 exec, exec, s[4:5]
	s_cbranch_execz .LBB1_36
.LBB1_34:
	v_mov_b32_e32 v1, 0
	v_mov_b32_e32 v35, v34
	v_lshlrev_b64 v[2:3], 5, v[0:1]
	s_lshl_b32 s6, s16, 5
	s_mov_b64 s[4:5], 0
.LBB1_35:                               ; =>This Inner Loop Header: Depth=1
	v_mov_b32_e32 v1, s15
	v_add_co_u32_e64 v22, s[0:1], s14, v2
	v_mov_b32_e32 v4, s3
	v_add_co_u32_e32 v20, vcc, s2, v2
	v_addc_co_u32_e64 v23, s[0:1], v1, v3, s[0:1]
	v_addc_co_u32_e32 v21, vcc, v4, v3, vcc
	global_load_dwordx4 v[4:7], v[22:23], off
	global_load_dwordx4 v[8:11], v[22:23], off offset:16
	global_load_dwordx4 v[12:15], v[20:21], off
	global_load_dwordx4 v[16:19], v[20:21], off offset:16
	v_add_co_u32_e32 v20, vcc, s11, v2
	s_add_u32 s11, s11, s6
	v_mov_b32_e32 v1, s12
	s_addc_u32 s12, s12, 0
	s_add_u32 s14, s14, s6
	s_addc_u32 s15, s15, 0
	v_add_u32_e32 v0, s16, v0
	v_addc_co_u32_e32 v21, vcc, v1, v3, vcc
	s_add_u32 s2, s2, s6
	v_cmp_le_i32_e32 vcc, s10, v0
	s_addc_u32 s3, s3, 0
	s_or_b64 s[4:5], vcc, s[4:5]
	s_waitcnt vmcnt(3)
	v_pk_mul_f32 v[4:5], v[4:5], v[34:35]
	v_pk_mul_f32 v[6:7], v[6:7], v[34:35]
	s_waitcnt vmcnt(2)
	v_pk_mul_f32 v[8:9], v[8:9], v[34:35]
	v_pk_mul_f32 v[10:11], v[10:11], v[34:35]
	;; [unrolled: 3-line block ×4, first 2 shown]
	global_store_dwordx4 v[20:21], v[4:7], off
	global_store_dwordx4 v[20:21], v[8:11], off offset:16
	s_andn2_b64 exec, exec, s[4:5]
	s_cbranch_execnz .LBB1_35
.LBB1_36:
	s_endpgm
	.section	.rodata,"a",@progbits
	.p2align	6, 0x0
	.amdhsa_kernel _ZN4vllm15rms_norm_kernelIfLi8ELi2EEEvPT_PKS1_lllllS4_fii
		.amdhsa_group_segment_fixed_size 68
		.amdhsa_private_segment_fixed_size 0
		.amdhsa_kernarg_size 336
		.amdhsa_user_sgpr_count 6
		.amdhsa_user_sgpr_private_segment_buffer 1
		.amdhsa_user_sgpr_dispatch_ptr 0
		.amdhsa_user_sgpr_queue_ptr 0
		.amdhsa_user_sgpr_kernarg_segment_ptr 1
		.amdhsa_user_sgpr_dispatch_id 0
		.amdhsa_user_sgpr_flat_scratch_init 0
		.amdhsa_user_sgpr_kernarg_preload_length 0
		.amdhsa_user_sgpr_kernarg_preload_offset 0
		.amdhsa_user_sgpr_private_segment_size 0
		.amdhsa_uses_dynamic_stack 0
		.amdhsa_system_sgpr_private_segment_wavefront_offset 0
		.amdhsa_system_sgpr_workgroup_id_x 1
		.amdhsa_system_sgpr_workgroup_id_y 0
		.amdhsa_system_sgpr_workgroup_id_z 0
		.amdhsa_system_sgpr_workgroup_info 0
		.amdhsa_system_vgpr_workitem_id 0
		.amdhsa_next_free_vgpr 54
		.amdhsa_next_free_sgpr 21
		.amdhsa_accum_offset 56
		.amdhsa_reserve_vcc 1
		.amdhsa_reserve_flat_scratch 0
		.amdhsa_float_round_mode_32 0
		.amdhsa_float_round_mode_16_64 0
		.amdhsa_float_denorm_mode_32 3
		.amdhsa_float_denorm_mode_16_64 3
		.amdhsa_dx10_clamp 1
		.amdhsa_ieee_mode 1
		.amdhsa_fp16_overflow 0
		.amdhsa_tg_split 0
		.amdhsa_exception_fp_ieee_invalid_op 0
		.amdhsa_exception_fp_denorm_src 0
		.amdhsa_exception_fp_ieee_div_zero 0
		.amdhsa_exception_fp_ieee_overflow 0
		.amdhsa_exception_fp_ieee_underflow 0
		.amdhsa_exception_fp_ieee_inexact 0
		.amdhsa_exception_int_div_zero 0
	.end_amdhsa_kernel
	.section	.text._ZN4vllm15rms_norm_kernelIfLi8ELi2EEEvPT_PKS1_lllllS4_fii,"axG",@progbits,_ZN4vllm15rms_norm_kernelIfLi8ELi2EEEvPT_PKS1_lllllS4_fii,comdat
.Lfunc_end1:
	.size	_ZN4vllm15rms_norm_kernelIfLi8ELi2EEEvPT_PKS1_lllllS4_fii, .Lfunc_end1-_ZN4vllm15rms_norm_kernelIfLi8ELi2EEEvPT_PKS1_lllllS4_fii
                                        ; -- End function
	.section	.AMDGPU.csdata,"",@progbits
; Kernel info:
; codeLenInByte = 2660
; NumSgprs: 25
; NumVgprs: 54
; NumAgprs: 0
; TotalNumVgprs: 54
; ScratchSize: 0
; MemoryBound: 0
; FloatMode: 240
; IeeeMode: 1
; LDSByteSize: 68 bytes/workgroup (compile time only)
; SGPRBlocks: 3
; VGPRBlocks: 6
; NumSGPRsForWavesPerEU: 25
; NumVGPRsForWavesPerEU: 54
; AccumOffset: 56
; Occupancy: 8
; WaveLimiterHint : 0
; COMPUTE_PGM_RSRC2:SCRATCH_EN: 0
; COMPUTE_PGM_RSRC2:USER_SGPR: 6
; COMPUTE_PGM_RSRC2:TRAP_HANDLER: 0
; COMPUTE_PGM_RSRC2:TGID_X_EN: 1
; COMPUTE_PGM_RSRC2:TGID_Y_EN: 0
; COMPUTE_PGM_RSRC2:TGID_Z_EN: 0
; COMPUTE_PGM_RSRC2:TIDIG_COMP_CNT: 0
; COMPUTE_PGM_RSRC3_GFX90A:ACCUM_OFFSET: 13
; COMPUTE_PGM_RSRC3_GFX90A:TG_SPLIT: 0
	.section	.text._ZN4vllm15rms_norm_kernelIfLi4ELi2EEEvPT_PKS1_lllllS4_fii,"axG",@progbits,_ZN4vllm15rms_norm_kernelIfLi4ELi2EEEvPT_PKS1_lllllS4_fii,comdat
	.protected	_ZN4vllm15rms_norm_kernelIfLi4ELi2EEEvPT_PKS1_lllllS4_fii ; -- Begin function _ZN4vllm15rms_norm_kernelIfLi4ELi2EEEvPT_PKS1_lllllS4_fii
	.globl	_ZN4vllm15rms_norm_kernelIfLi4ELi2EEEvPT_PKS1_lllllS4_fii
	.p2align	8
	.type	_ZN4vllm15rms_norm_kernelIfLi4ELi2EEEvPT_PKS1_lllllS4_fii,@function
_ZN4vllm15rms_norm_kernelIfLi4ELi2EEEvPT_PKS1_lllllS4_fii: ; @_ZN4vllm15rms_norm_kernelIfLi4ELi2EEEvPT_PKS1_lllllS4_fii
; %bb.0:
	s_load_dwordx4 s[8:11], s[4:5], 0x8
	s_load_dword s7, s[4:5], 0x48
	s_load_dword s12, s[4:5], 0x5c
	s_waitcnt lgkmcnt(0)
	s_mul_i32 s0, s6, s11
	s_mul_hi_u32 s1, s6, s10
	s_add_i32 s1, s1, s0
	s_mul_i32 s0, s6, s10
	s_lshl_b64 s[2:3], s[0:1], 2
	s_add_u32 s15, s8, s2
	s_addc_u32 s16, s9, s3
	s_and_b32 s14, s12, 0xffff
	s_and_b32 s0, s15, 15
	s_mov_b32 s1, 0
	s_cmp_lg_u64 s[0:1], 0
	s_cselect_b64 s[0:1], -1, 0
	s_and_b32 s10, s7, 3
	s_cmp_lg_u32 s10, 0
	s_cselect_b64 s[10:11], -1, 0
	s_or_b64 s[0:1], s[0:1], s[10:11]
	s_and_b64 vcc, exec, s[0:1]
	s_cbranch_vccz .LBB2_14
; %bb.1:
	s_sub_i32 s0, 0, s15
	s_bfe_u32 s0, s0, 0x20002
	s_min_i32 s0, s0, s7
	v_cmp_gt_i32_e32 vcc, s0, v0
	v_mov_b32_e32 v1, 0
	s_and_saveexec_b64 s[10:11], vcc
	s_cbranch_execz .LBB2_5
; %bb.2:
	s_add_u32 s1, s8, s2
	v_lshlrev_b32_e32 v1, 2, v0
	s_addc_u32 s12, s9, s3
	s_mov_b32 s17, 0
	v_mov_b32_e32 v3, s12
	v_add_co_u32_e32 v2, vcc, s1, v1
	v_addc_co_u32_e32 v3, vcc, 0, v3, vcc
	s_lshl_b32 s1, s14, 2
	s_mov_b64 s[12:13], 0
	v_mov_b32_e32 v1, 0
	v_mov_b32_e32 v4, s17
	v_mov_b32_e32 v5, v0
.LBB2_3:                                ; =>This Inner Loop Header: Depth=1
	global_load_dword v6, v[2:3], off
	v_add_co_u32_e32 v2, vcc, s1, v2
	v_add_u32_e32 v5, s14, v5
	v_addc_co_u32_e32 v3, vcc, v3, v4, vcc
	v_cmp_le_i32_e32 vcc, s0, v5
	s_or_b64 s[12:13], vcc, s[12:13]
	s_waitcnt vmcnt(0)
	v_fmac_f32_e32 v1, v6, v6
	s_andn2_b64 exec, exec, s[12:13]
	s_cbranch_execnz .LBB2_3
; %bb.4:
	s_or_b64 exec, exec, s[12:13]
.LBB2_5:
	s_or_b64 exec, exec, s[10:11]
	s_sub_i32 s17, s7, s0
	s_ashr_i32 s10, s17, 31
	s_lshr_b32 s10, s10, 30
	s_add_i32 s10, s17, s10
	s_ashr_i32 s18, s10, 2
	s_ashr_i32 s1, s0, 31
	v_cmp_gt_i32_e32 vcc, s18, v0
	s_and_saveexec_b64 s[10:11], vcc
	s_cbranch_execz .LBB2_9
; %bb.6:
	s_lshl_b64 s[12:13], s[0:1], 2
	s_add_u32 s12, s8, s12
	s_addc_u32 s13, s9, s13
	s_add_u32 s12, s12, s2
	v_lshlrev_b32_e32 v2, 4, v0
	s_addc_u32 s13, s13, s3
	v_mov_b32_e32 v3, s13
	v_add_co_u32_e32 v2, vcc, s12, v2
	v_addc_co_u32_e32 v3, vcc, 0, v3, vcc
	s_mov_b32 s20, 0
	v_add_co_u32_e32 v2, vcc, 8, v2
	v_addc_co_u32_e32 v3, vcc, 0, v3, vcc
	s_lshl_b32 s19, s14, 4
	s_mov_b64 s[12:13], 0
	v_mov_b32_e32 v4, s20
	v_mov_b32_e32 v5, v0
.LBB2_7:                                ; =>This Inner Loop Header: Depth=1
	global_load_dwordx4 v[6:9], v[2:3], off offset:-8
	v_add_co_u32_e32 v2, vcc, s19, v2
	v_add_u32_e32 v5, s14, v5
	v_addc_co_u32_e32 v3, vcc, v3, v4, vcc
	v_cmp_le_i32_e32 vcc, s18, v5
	s_or_b64 s[12:13], vcc, s[12:13]
	s_waitcnt vmcnt(0)
	v_fmac_f32_e32 v1, v6, v6
	v_fmac_f32_e32 v1, v7, v7
	;; [unrolled: 1-line block ×4, first 2 shown]
	s_andn2_b64 exec, exec, s[12:13]
	s_cbranch_execnz .LBB2_7
; %bb.8:
	s_or_b64 exec, exec, s[12:13]
.LBB2_9:
	s_or_b64 exec, exec, s[10:11]
	v_lshl_add_u32 v2, s18, 2, v0
	v_cmp_gt_i32_e32 vcc, s17, v2
	s_and_saveexec_b64 s[10:11], vcc
	s_cbranch_execz .LBB2_13
; %bb.10:
	s_lshl_b64 s[0:1], s[0:1], 2
	s_add_u32 s0, s2, s0
	s_addc_u32 s1, s3, s1
	v_ashrrev_i32_e32 v3, 31, v2
	s_add_u32 s0, s8, s0
	v_lshlrev_b64 v[4:5], 2, v[2:3]
	s_addc_u32 s1, s9, s1
	v_mov_b32_e32 v3, s1
	v_add_co_u32_e32 v4, vcc, s0, v4
	s_mov_b32 s13, 0
	v_addc_co_u32_e32 v5, vcc, v3, v5, vcc
	s_lshl_b32 s12, s14, 2
	s_mov_b64 s[0:1], 0
	v_mov_b32_e32 v3, s13
.LBB2_11:                               ; =>This Inner Loop Header: Depth=1
	global_load_dword v6, v[4:5], off
	v_add_co_u32_e32 v4, vcc, s12, v4
	v_add_u32_e32 v2, s14, v2
	v_addc_co_u32_e32 v5, vcc, v5, v3, vcc
	v_cmp_le_i32_e32 vcc, s17, v2
	s_or_b64 s[0:1], vcc, s[0:1]
	s_waitcnt vmcnt(0)
	v_fmac_f32_e32 v1, v6, v6
	s_andn2_b64 exec, exec, s[0:1]
	s_cbranch_execnz .LBB2_11
; %bb.12:
	s_or_b64 exec, exec, s[0:1]
.LBB2_13:
	s_or_b64 exec, exec, s[10:11]
	s_branch .LBB2_20
.LBB2_14:
                                        ; implicit-def: $vgpr1
	s_cbranch_execz .LBB2_20
; %bb.15:
	s_ashr_i32 s12, s7, 2
	v_cmp_gt_i32_e32 vcc, s12, v0
	v_mov_b32_e32 v1, 0
	s_and_saveexec_b64 s[0:1], vcc
	s_cbranch_execz .LBB2_19
; %bb.16:
	s_add_u32 s10, s8, s2
	v_lshlrev_b32_e32 v1, 4, v0
	s_addc_u32 s11, s9, s3
	v_mov_b32_e32 v2, s11
	v_add_co_u32_e32 v1, vcc, s10, v1
	v_addc_co_u32_e32 v3, vcc, 0, v2, vcc
	s_mov_b32 s17, 0
	v_add_co_u32_e32 v2, vcc, 8, v1
	v_addc_co_u32_e32 v3, vcc, 0, v3, vcc
	s_lshl_b32 s13, s14, 4
	s_mov_b64 s[10:11], 0
	v_mov_b32_e32 v1, 0
	v_mov_b32_e32 v4, s17
	;; [unrolled: 1-line block ×3, first 2 shown]
.LBB2_17:                               ; =>This Inner Loop Header: Depth=1
	global_load_dwordx4 v[6:9], v[2:3], off offset:-8
	v_add_co_u32_e32 v2, vcc, s13, v2
	v_add_u32_e32 v5, s14, v5
	v_addc_co_u32_e32 v3, vcc, v3, v4, vcc
	v_cmp_le_i32_e32 vcc, s12, v5
	s_or_b64 s[10:11], vcc, s[10:11]
	s_waitcnt vmcnt(0)
	v_fmac_f32_e32 v1, v6, v6
	v_fmac_f32_e32 v1, v7, v7
	;; [unrolled: 1-line block ×4, first 2 shown]
	s_andn2_b64 exec, exec, s[10:11]
	s_cbranch_execnz .LBB2_17
; %bb.18:
	s_or_b64 exec, exec, s[10:11]
.LBB2_19:
	s_or_b64 exec, exec, s[0:1]
.LBB2_20:
	v_mbcnt_lo_u32_b32 v2, -1, 0
	v_mbcnt_hi_u32_b32 v2, -1, v2
	v_and_b32_e32 v3, 63, v2
	v_cmp_ne_u32_e32 vcc, 63, v3
	v_addc_co_u32_e32 v4, vcc, 0, v2, vcc
	v_lshlrev_b32_e32 v4, 2, v4
	ds_bpermute_b32 v4, v4, v1
	v_and_b32_e32 v5, 0x3c0, v0
	v_sub_u32_e64 v5, s14, v5 clamp
	v_add_u32_e32 v6, 1, v2
	v_cmp_lt_u32_e32 vcc, v6, v5
	s_waitcnt lgkmcnt(0)
	v_add_f32_e32 v4, v1, v4
	v_cndmask_b32_e32 v1, v1, v4, vcc
	v_cmp_gt_u32_e32 vcc, 62, v3
	v_cndmask_b32_e64 v4, 0, 1, vcc
	v_lshlrev_b32_e32 v4, 1, v4
	v_add_lshl_u32 v4, v4, v2, 2
	ds_bpermute_b32 v4, v4, v1
	v_add_u32_e32 v6, 2, v2
	v_cmp_lt_u32_e32 vcc, v6, v5
	v_add_u32_e32 v6, 4, v2
	s_waitcnt lgkmcnt(0)
	v_add_f32_e32 v4, v1, v4
	v_cndmask_b32_e32 v1, v1, v4, vcc
	v_cmp_gt_u32_e32 vcc, 60, v3
	v_cndmask_b32_e64 v4, 0, 1, vcc
	v_lshlrev_b32_e32 v4, 2, v4
	v_add_lshl_u32 v4, v4, v2, 2
	ds_bpermute_b32 v4, v4, v1
	v_cmp_lt_u32_e32 vcc, v6, v5
	v_add_u32_e32 v6, 8, v2
	s_waitcnt lgkmcnt(0)
	v_add_f32_e32 v4, v1, v4
	v_cndmask_b32_e32 v1, v1, v4, vcc
	v_cmp_gt_u32_e32 vcc, 56, v3
	v_cndmask_b32_e64 v4, 0, 1, vcc
	v_lshlrev_b32_e32 v4, 3, v4
	v_add_lshl_u32 v4, v4, v2, 2
	ds_bpermute_b32 v4, v4, v1
	;; [unrolled: 10-line block ×3, first 2 shown]
	v_cmp_lt_u32_e32 vcc, v6, v5
	s_waitcnt lgkmcnt(0)
	v_add_f32_e32 v4, v1, v4
	v_cndmask_b32_e32 v1, v1, v4, vcc
	v_cmp_gt_u32_e32 vcc, 32, v3
	v_cndmask_b32_e64 v3, 0, 1, vcc
	v_lshlrev_b32_e32 v3, 5, v3
	v_add_lshl_u32 v3, v3, v2, 2
	ds_bpermute_b32 v3, v3, v1
	v_add_u32_e32 v4, 32, v2
	v_cmp_lt_u32_e32 vcc, v4, v5
	s_waitcnt lgkmcnt(0)
	v_add_f32_e32 v3, v1, v3
	v_cndmask_b32_e32 v1, v1, v3, vcc
	v_cmp_eq_u32_e32 vcc, 0, v2
	s_and_saveexec_b64 s[0:1], vcc
	s_cbranch_execz .LBB2_22
; %bb.21:
	v_lshrrev_b32_e32 v3, 4, v0
	v_and_b32_e32 v3, 60, v3
	ds_write_b32 v3, v1
.LBB2_22:
	s_or_b64 exec, exec, s[0:1]
	v_cmp_gt_u32_e32 vcc, 16, v0
	s_waitcnt lgkmcnt(0)
	s_barrier
	s_and_saveexec_b64 s[10:11], vcc
	s_cbranch_execz .LBB2_24
; %bb.23:
	v_lshlrev_b32_e32 v1, 2, v2
	ds_read_b32 v1, v1
	v_and_b32_e32 v3, 15, v2
	v_cmp_ne_u32_e32 vcc, 15, v3
	v_addc_co_u32_e32 v4, vcc, 0, v2, vcc
	v_lshlrev_b32_e32 v4, 2, v4
	s_waitcnt lgkmcnt(0)
	ds_bpermute_b32 v4, v4, v1
	s_add_i32 s0, s14, 63
	s_lshr_b32 s12, s0, 6
	v_add_u32_e32 v5, 1, v3
	v_cmp_gt_u32_e64 s[0:1], 14, v3
	v_cmp_gt_u32_e32 vcc, s12, v5
	v_cndmask_b32_e64 v5, 0, 1, s[0:1]
	s_waitcnt lgkmcnt(0)
	v_add_f32_e32 v4, v1, v4
	v_lshlrev_b32_e32 v5, 1, v5
	v_cndmask_b32_e32 v4, v1, v4, vcc
	v_add_lshl_u32 v5, v5, v2, 2
	ds_bpermute_b32 v5, v5, v4
	v_add_u32_e32 v6, 2, v3
	v_cmp_gt_u32_e64 s[0:1], s12, v6
	v_add_u32_e32 v6, 4, v3
	s_waitcnt lgkmcnt(0)
	v_add_f32_e32 v5, v4, v5
	v_cndmask_b32_e64 v4, v4, v5, s[0:1]
	v_cmp_gt_u32_e64 s[0:1], 12, v3
	v_cndmask_b32_e64 v5, 0, 1, s[0:1]
	v_lshlrev_b32_e32 v5, 2, v5
	v_add_lshl_u32 v5, v5, v2, 2
	ds_bpermute_b32 v5, v5, v4
	v_cmp_gt_u32_e64 s[0:1], s12, v6
	s_waitcnt lgkmcnt(0)
	v_add_f32_e32 v5, v4, v5
	v_cndmask_b32_e64 v4, v4, v5, s[0:1]
	v_cmp_gt_u32_e64 s[0:1], 8, v3
	v_cndmask_b32_e64 v5, 0, 1, s[0:1]
	v_lshlrev_b32_e32 v5, 3, v5
	v_add_lshl_u32 v2, v5, v2, 2
	ds_bpermute_b32 v2, v2, v4
	v_add_u32_e32 v3, 8, v3
	v_cmp_gt_u32_e64 s[0:1], s12, v3
	s_waitcnt lgkmcnt(0)
	v_add_f32_e32 v2, v4, v2
	v_cndmask_b32_e64 v2, v4, v2, s[0:1]
	v_cndmask_b32_e32 v1, v1, v2, vcc
.LBB2_24:
	s_or_b64 exec, exec, s[10:11]
	v_cmp_eq_u32_e32 vcc, 0, v0
	s_and_saveexec_b64 s[0:1], vcc
	s_cbranch_execz .LBB2_26
; %bb.25:
	v_cvt_f32_i32_e32 v2, s7
	s_load_dword s12, s[4:5], 0x40
	v_div_scale_f32 v3, s[10:11], v2, v2, v1
	v_rcp_f32_e32 v4, v3
	v_div_scale_f32 v5, vcc, v1, v2, v1
	s_mov_b32 s10, 0x800000
	v_fma_f32 v6, -v3, v4, 1.0
	v_fmac_f32_e32 v4, v6, v4
	v_mul_f32_e32 v6, v5, v4
	v_fma_f32 v7, -v3, v6, v5
	v_fmac_f32_e32 v6, v7, v4
	v_fma_f32 v3, -v3, v6, v5
	v_div_fmas_f32 v3, v3, v4, v6
	v_div_fixup_f32 v1, v3, v2, v1
	s_waitcnt lgkmcnt(0)
	v_add_f32_e32 v1, s12, v1
	v_mul_f32_e32 v2, 0x4b800000, v1
	v_cmp_gt_f32_e32 vcc, s10, v1
	v_cndmask_b32_e32 v1, v1, v2, vcc
	v_rsq_f32_e32 v1, v1
	v_mul_f32_e32 v2, 0x45800000, v1
	v_cndmask_b32_e32 v1, v1, v2, vcc
	v_mov_b32_e32 v2, 0
	ds_write_b32 v2, v1 offset:64
.LBB2_26:
	s_or_b64 exec, exec, s[0:1]
	s_ashr_i32 s0, s7, 31
	s_lshr_b32 s0, s0, 30
	s_add_i32 s0, s7, s0
	s_ashr_i32 s17, s0, 2
	v_cmp_gt_i32_e32 vcc, s17, v0
	s_waitcnt lgkmcnt(0)
	s_barrier
	s_and_saveexec_b64 s[0:1], vcc
	s_cbranch_execz .LBB2_36
; %bb.27:
	v_cvt_f32_u32_e32 v1, s14
	s_load_dwordx2 s[0:1], s[4:5], 0x0
	s_load_dwordx2 s[10:11], s[4:5], 0x38
	s_mul_i32 s4, s6, s7
	s_mov_b32 s5, 0
	v_rcp_iflag_f32_e32 v1, v1
	s_lshl_b64 s[4:5], s[4:5], 2
	v_add_u32_e32 v3, s14, v0
	s_waitcnt lgkmcnt(0)
	s_add_u32 s18, s0, s4
	v_mul_f32_e32 v1, 0x4f7ffffe, v1
	v_cvt_u32_f32_e32 v1, v1
	v_mov_b32_e32 v5, s14
	v_cmp_gt_i32_e32 vcc, s17, v3
	s_addc_u32 s19, s1, s5
	v_max_i32_e32 v4, s17, v3
	v_addc_co_u32_e64 v3, s[0:1], v0, v5, vcc
	s_sub_i32 s0, 0, s14
	v_sub_u32_e32 v3, v4, v3
	v_mul_lo_u32 v4, s0, v1
	v_mul_hi_u32 v4, v1, v4
	v_add_u32_e32 v1, v1, v4
	v_mul_hi_u32 v1, v3, v1
	v_mul_lo_u32 v4, v1, s14
	v_sub_u32_e32 v3, v3, v4
	v_add_u32_e32 v4, 1, v1
	v_cmp_le_u32_e64 s[0:1], s14, v3
	v_cndmask_b32_e64 v1, v1, v4, s[0:1]
	v_subrev_u32_e32 v4, s14, v3
	v_mov_b32_e32 v2, 0
	v_cndmask_b32_e64 v3, v3, v4, s[0:1]
	ds_read_b32 v2, v2 offset:64
	v_add_u32_e32 v4, 1, v1
	v_cmp_le_u32_e64 s[0:1], s14, v3
	v_cndmask_b32_e64 v1, v1, v4, s[0:1]
	v_addc_co_u32_e32 v8, vcc, 1, v1, vcc
	s_cmp_lg_u32 s14, 1
	v_cmp_gt_u32_e32 vcc, 2, v8
	s_cselect_b64 s[0:1], -1, 0
	s_or_b64 s[0:1], vcc, s[0:1]
	s_mov_b64 s[4:5], 0
	s_and_saveexec_b64 s[6:7], s[0:1]
	s_xor_b64 s[0:1], exec, s[6:7]
	s_cbranch_execnz .LBB2_30
; %bb.28:
	s_andn2_saveexec_b64 s[6:7], s[0:1]
	s_cbranch_execnz .LBB2_31
.LBB2_29:
	s_or_b64 exec, exec, s[6:7]
	s_and_b64 exec, exec, s[4:5]
	s_cbranch_execnz .LBB2_34
	s_branch .LBB2_36
.LBB2_30:
	s_mov_b64 s[4:5], exec
                                        ; implicit-def: $vgpr8
	s_andn2_saveexec_b64 s[6:7], s[0:1]
	s_cbranch_execz .LBB2_29
.LBB2_31:
	v_and_b32_e32 v9, -2, v8
	v_add_u32_e32 v1, 1, v0
	s_waitcnt lgkmcnt(0)
	v_mov_b32_e32 v3, v2
	s_mov_b64 s[12:13], 0
	v_mov_b32_e32 v10, s16
	v_mov_b32_e32 v11, s11
	;; [unrolled: 1-line block ×5, first 2 shown]
	v_pk_mov_b32 v[6:7], v[0:1], v[0:1] op_sel:[0,1]
.LBB2_32:                               ; =>This Inner Loop Header: Depth=1
	v_mov_b32_e32 v4, v6
	v_lshlrev_b64 v[30:31], 4, v[4:5]
	v_add_co_u32_e32 v22, vcc, s15, v30
	v_addc_co_u32_e32 v23, vcc, v10, v31, vcc
	v_mov_b32_e32 v4, v7
	v_add_co_u32_e32 v24, vcc, s10, v30
	v_lshlrev_b64 v[32:33], 4, v[4:5]
	v_addc_co_u32_e32 v25, vcc, v11, v31, vcc
	v_add_co_u32_e32 v34, vcc, s15, v32
	v_addc_co_u32_e32 v35, vcc, v10, v33, vcc
	v_add_co_u32_e32 v36, vcc, s10, v32
	global_load_dwordx4 v[14:17], v[22:23], off
	global_load_dwordx4 v[18:21], v[24:25], off
	v_addc_co_u32_e32 v37, vcc, v11, v33, vcc
	global_load_dwordx4 v[22:25], v[34:35], off
	global_load_dwordx4 v[26:29], v[36:37], off
	v_add_u32_e32 v13, -2, v13
	v_cmp_eq_u32_e32 vcc, 0, v13
	v_add_co_u32_e64 v30, s[0:1], s18, v30
	v_add_u32_e32 v6, 2, v6
	v_add_u32_e32 v7, 2, v7
	v_addc_co_u32_e64 v31, s[0:1], v12, v31, s[0:1]
	s_or_b64 s[12:13], vcc, s[12:13]
	v_add_co_u32_e32 v32, vcc, s18, v32
	v_addc_co_u32_e32 v33, vcc, v12, v33, vcc
	s_waitcnt vmcnt(3)
	v_mov_b32_e32 v34, v14
	v_mov_b32_e32 v14, v16
	s_waitcnt vmcnt(2)
	v_mov_b32_e32 v16, v18
	s_waitcnt vmcnt(1)
	v_mov_b32_e32 v35, v22
	v_mov_b32_e32 v22, v15
	;; [unrolled: 1-line block ×5, first 2 shown]
	s_waitcnt vmcnt(0)
	v_mov_b32_e32 v17, v26
	v_mov_b32_e32 v26, v19
	;; [unrolled: 1-line block ×4, first 2 shown]
	v_pk_mul_f32 v[20:21], v[34:35], v[2:3]
	v_pk_mul_f32 v[22:23], v[22:23], v[2:3]
	;; [unrolled: 1-line block ×8, first 2 shown]
	v_mov_b32_e32 v18, v36
	v_mov_b32_e32 v19, v14
	;; [unrolled: 1-line block ×6, first 2 shown]
	global_store_dwordx4 v[30:31], v[18:21], off
	global_store_dwordx4 v[32:33], v[14:17], off
	s_andn2_b64 exec, exec, s[12:13]
	s_cbranch_execnz .LBB2_32
; %bb.33:
	s_or_b64 exec, exec, s[12:13]
	v_cmp_ne_u32_e32 vcc, v8, v9
	s_andn2_b64 s[0:1], s[4:5], exec
	s_and_b64 s[4:5], vcc, exec
	v_add_u32_e32 v0, v0, v9
	s_or_b64 s[4:5], s[0:1], s[4:5]
	s_or_b64 exec, exec, s[6:7]
	s_and_b64 exec, exec, s[4:5]
	s_cbranch_execz .LBB2_36
.LBB2_34:
	s_lshl_b32 s4, s14, 4
	s_add_u32 s0, s8, s2
	s_addc_u32 s1, s9, s3
	s_add_u32 s2, s0, 8
	s_addc_u32 s6, s1, 0
	s_add_u32 s3, s10, 8
	s_mov_b32 s5, 0
	v_mov_b32_e32 v1, 0
	s_addc_u32 s7, s11, 0
	s_waitcnt lgkmcnt(0)
	v_mov_b32_e32 v3, v2
	v_lshlrev_b64 v[4:5], 4, v[0:1]
	s_mov_b64 s[0:1], 0
	v_mov_b32_e32 v1, s6
	v_mov_b32_e32 v6, s7
	;; [unrolled: 1-line block ×4, first 2 shown]
.LBB2_35:                               ; =>This Inner Loop Header: Depth=1
	v_add_co_u32_e32 v18, vcc, s2, v4
	v_addc_co_u32_e32 v19, vcc, v1, v5, vcc
	v_add_co_u32_e32 v20, vcc, s3, v4
	v_addc_co_u32_e32 v21, vcc, v6, v5, vcc
	global_load_dwordx4 v[10:13], v[18:19], off offset:-8
	global_load_dwordx4 v[14:17], v[20:21], off offset:-8
	v_add_co_u32_e32 v18, vcc, s18, v4
	v_addc_co_u32_e32 v19, vcc, v7, v5, vcc
	v_add_co_u32_e32 v4, vcc, s4, v4
	v_add_u32_e32 v0, s14, v0
	v_addc_co_u32_e32 v5, vcc, v5, v8, vcc
	v_cmp_le_i32_e32 vcc, s17, v0
	s_or_b64 s[0:1], vcc, s[0:1]
	s_waitcnt vmcnt(1)
	v_pk_mul_f32 v[10:11], v[10:11], v[2:3]
	v_pk_mul_f32 v[12:13], v[12:13], v[2:3]
	s_waitcnt vmcnt(0)
	v_pk_mul_f32 v[10:11], v[10:11], v[14:15]
	v_pk_mul_f32 v[12:13], v[12:13], v[16:17]
	global_store_dwordx4 v[18:19], v[10:13], off
	s_andn2_b64 exec, exec, s[0:1]
	s_cbranch_execnz .LBB2_35
.LBB2_36:
	s_endpgm
	.section	.rodata,"a",@progbits
	.p2align	6, 0x0
	.amdhsa_kernel _ZN4vllm15rms_norm_kernelIfLi4ELi2EEEvPT_PKS1_lllllS4_fii
		.amdhsa_group_segment_fixed_size 68
		.amdhsa_private_segment_fixed_size 0
		.amdhsa_kernarg_size 336
		.amdhsa_user_sgpr_count 6
		.amdhsa_user_sgpr_private_segment_buffer 1
		.amdhsa_user_sgpr_dispatch_ptr 0
		.amdhsa_user_sgpr_queue_ptr 0
		.amdhsa_user_sgpr_kernarg_segment_ptr 1
		.amdhsa_user_sgpr_dispatch_id 0
		.amdhsa_user_sgpr_flat_scratch_init 0
		.amdhsa_user_sgpr_kernarg_preload_length 0
		.amdhsa_user_sgpr_kernarg_preload_offset 0
		.amdhsa_user_sgpr_private_segment_size 0
		.amdhsa_uses_dynamic_stack 0
		.amdhsa_system_sgpr_private_segment_wavefront_offset 0
		.amdhsa_system_sgpr_workgroup_id_x 1
		.amdhsa_system_sgpr_workgroup_id_y 0
		.amdhsa_system_sgpr_workgroup_id_z 0
		.amdhsa_system_sgpr_workgroup_info 0
		.amdhsa_system_vgpr_workitem_id 0
		.amdhsa_next_free_vgpr 38
		.amdhsa_next_free_sgpr 21
		.amdhsa_accum_offset 40
		.amdhsa_reserve_vcc 1
		.amdhsa_reserve_flat_scratch 0
		.amdhsa_float_round_mode_32 0
		.amdhsa_float_round_mode_16_64 0
		.amdhsa_float_denorm_mode_32 3
		.amdhsa_float_denorm_mode_16_64 3
		.amdhsa_dx10_clamp 1
		.amdhsa_ieee_mode 1
		.amdhsa_fp16_overflow 0
		.amdhsa_tg_split 0
		.amdhsa_exception_fp_ieee_invalid_op 0
		.amdhsa_exception_fp_denorm_src 0
		.amdhsa_exception_fp_ieee_div_zero 0
		.amdhsa_exception_fp_ieee_overflow 0
		.amdhsa_exception_fp_ieee_underflow 0
		.amdhsa_exception_fp_ieee_inexact 0
		.amdhsa_exception_int_div_zero 0
	.end_amdhsa_kernel
	.section	.text._ZN4vllm15rms_norm_kernelIfLi4ELi2EEEvPT_PKS1_lllllS4_fii,"axG",@progbits,_ZN4vllm15rms_norm_kernelIfLi4ELi2EEEvPT_PKS1_lllllS4_fii,comdat
.Lfunc_end2:
	.size	_ZN4vllm15rms_norm_kernelIfLi4ELi2EEEvPT_PKS1_lllllS4_fii, .Lfunc_end2-_ZN4vllm15rms_norm_kernelIfLi4ELi2EEEvPT_PKS1_lllllS4_fii
                                        ; -- End function
	.section	.AMDGPU.csdata,"",@progbits
; Kernel info:
; codeLenInByte = 2384
; NumSgprs: 25
; NumVgprs: 38
; NumAgprs: 0
; TotalNumVgprs: 38
; ScratchSize: 0
; MemoryBound: 0
; FloatMode: 240
; IeeeMode: 1
; LDSByteSize: 68 bytes/workgroup (compile time only)
; SGPRBlocks: 3
; VGPRBlocks: 4
; NumSGPRsForWavesPerEU: 25
; NumVGPRsForWavesPerEU: 38
; AccumOffset: 40
; Occupancy: 8
; WaveLimiterHint : 0
; COMPUTE_PGM_RSRC2:SCRATCH_EN: 0
; COMPUTE_PGM_RSRC2:USER_SGPR: 6
; COMPUTE_PGM_RSRC2:TRAP_HANDLER: 0
; COMPUTE_PGM_RSRC2:TGID_X_EN: 1
; COMPUTE_PGM_RSRC2:TGID_Y_EN: 0
; COMPUTE_PGM_RSRC2:TGID_Z_EN: 0
; COMPUTE_PGM_RSRC2:TIDIG_COMP_CNT: 0
; COMPUTE_PGM_RSRC3_GFX90A:ACCUM_OFFSET: 9
; COMPUTE_PGM_RSRC3_GFX90A:TG_SPLIT: 0
	.section	.text._ZN4vllm15rms_norm_kernelIfLi2ELi2EEEvPT_PKS1_lllllS4_fii,"axG",@progbits,_ZN4vllm15rms_norm_kernelIfLi2ELi2EEEvPT_PKS1_lllllS4_fii,comdat
	.protected	_ZN4vllm15rms_norm_kernelIfLi2ELi2EEEvPT_PKS1_lllllS4_fii ; -- Begin function _ZN4vllm15rms_norm_kernelIfLi2ELi2EEEvPT_PKS1_lllllS4_fii
	.globl	_ZN4vllm15rms_norm_kernelIfLi2ELi2EEEvPT_PKS1_lllllS4_fii
	.p2align	8
	.type	_ZN4vllm15rms_norm_kernelIfLi2ELi2EEEvPT_PKS1_lllllS4_fii,@function
_ZN4vllm15rms_norm_kernelIfLi2ELi2EEEvPT_PKS1_lllllS4_fii: ; @_ZN4vllm15rms_norm_kernelIfLi2ELi2EEEvPT_PKS1_lllllS4_fii
; %bb.0:
	s_load_dwordx4 s[0:3], s[4:5], 0x8
	s_load_dword s7, s[4:5], 0x48
	s_load_dword s10, s[4:5], 0x5c
	s_mov_b32 s11, 0
	s_waitcnt lgkmcnt(0)
	s_mul_i32 s3, s6, s3
	s_mul_hi_u32 s8, s6, s2
	s_add_i32 s3, s8, s3
	s_mul_i32 s2, s6, s2
	s_lshl_b64 s[8:9], s[2:3], 2
	s_add_u32 s2, s0, s8
	s_addc_u32 s3, s1, s9
	s_and_b32 s16, s10, 0xffff
	s_and_b32 s10, s2, 7
	s_cmp_lg_u64 s[10:11], 0
	s_cselect_b64 s[10:11], -1, 0
	s_bitcmp1_b32 s7, 0
	s_cselect_b64 s[12:13], -1, 0
	s_or_b64 s[10:11], s[10:11], s[12:13]
	s_and_b64 vcc, exec, s[10:11]
	s_cbranch_vccz .LBB3_13
; %bb.1:
	s_sub_i32 s10, 0, s2
	s_bfe_u32 s10, s10, 0x10002
	s_min_i32 s10, s10, s7
	v_cmp_gt_i32_e32 vcc, s10, v0
	v_mov_b32_e32 v1, 0
	s_and_saveexec_b64 s[12:13], vcc
	s_cbranch_execz .LBB3_4
; %bb.2:
	s_lshl_b32 s11, s16, 2
	s_mov_b32 s17, 0
	v_mov_b32_e32 v1, 0
	s_mov_b64 s[14:15], s[2:3]
.LBB3_3:                                ; =>This Inner Loop Header: Depth=1
	s_load_dword s18, s[14:15], 0x0
	s_add_i32 s17, s17, s16
	s_add_u32 s14, s14, s11
	s_addc_u32 s15, s15, 0
	s_cmp_ge_i32 s17, s10
	s_waitcnt lgkmcnt(0)
	v_fmac_f32_e64 v1, s18, s18
	s_cbranch_scc0 .LBB3_3
.LBB3_4:
	s_or_b64 exec, exec, s[12:13]
	s_sub_i32 s17, s7, s10
	s_lshr_b32 s12, s17, 31
	s_add_i32 s12, s17, s12
	s_ashr_i32 s18, s12, 1
	s_ashr_i32 s11, s10, 31
	v_cmp_gt_i32_e32 vcc, s18, v0
	s_and_saveexec_b64 s[12:13], vcc
	s_cbranch_execz .LBB3_8
; %bb.5:
	s_lshl_b64 s[14:15], s[10:11], 2
	s_add_u32 s14, s0, s14
	s_addc_u32 s15, s1, s15
	s_add_u32 s14, s14, s8
	v_lshlrev_b32_e32 v2, 3, v0
	s_addc_u32 s15, s15, s9
	v_mov_b32_e32 v3, s15
	v_add_co_u32_e32 v2, vcc, s14, v2
	v_addc_co_u32_e32 v3, vcc, 0, v3, vcc
	s_mov_b32 s20, 0
	v_add_co_u32_e32 v2, vcc, 4, v2
	v_addc_co_u32_e32 v3, vcc, 0, v3, vcc
	s_lshl_b32 s19, s16, 3
	s_mov_b64 s[14:15], 0
	v_mov_b32_e32 v4, s20
	v_mov_b32_e32 v5, v0
.LBB3_6:                                ; =>This Inner Loop Header: Depth=1
	global_load_dwordx2 v[6:7], v[2:3], off offset:-4
	v_add_co_u32_e32 v2, vcc, s19, v2
	v_add_u32_e32 v5, s16, v5
	v_addc_co_u32_e32 v3, vcc, v3, v4, vcc
	v_cmp_le_i32_e32 vcc, s18, v5
	s_or_b64 s[14:15], vcc, s[14:15]
	s_waitcnt vmcnt(0)
	v_fmac_f32_e32 v1, v6, v6
	v_fmac_f32_e32 v1, v7, v7
	s_andn2_b64 exec, exec, s[14:15]
	s_cbranch_execnz .LBB3_6
; %bb.7:
	s_or_b64 exec, exec, s[14:15]
.LBB3_8:
	s_or_b64 exec, exec, s[12:13]
	v_lshl_add_u32 v2, s18, 1, v0
	v_cmp_gt_i32_e32 vcc, s17, v2
	s_and_saveexec_b64 s[12:13], vcc
	s_cbranch_execz .LBB3_12
; %bb.9:
	s_lshl_b64 s[10:11], s[10:11], 2
	s_add_u32 s10, s8, s10
	s_addc_u32 s11, s9, s11
	v_ashrrev_i32_e32 v3, 31, v2
	s_add_u32 s10, s0, s10
	v_lshlrev_b64 v[4:5], 2, v[2:3]
	s_addc_u32 s11, s1, s11
	v_mov_b32_e32 v3, s11
	v_add_co_u32_e32 v4, vcc, s10, v4
	s_mov_b32 s15, 0
	v_addc_co_u32_e32 v5, vcc, v3, v5, vcc
	s_lshl_b32 s14, s16, 2
	s_mov_b64 s[10:11], 0
	v_mov_b32_e32 v3, s15
.LBB3_10:                               ; =>This Inner Loop Header: Depth=1
	global_load_dword v6, v[4:5], off
	v_add_co_u32_e32 v4, vcc, s14, v4
	v_add_u32_e32 v2, s16, v2
	v_addc_co_u32_e32 v5, vcc, v5, v3, vcc
	v_cmp_le_i32_e32 vcc, s17, v2
	s_or_b64 s[10:11], vcc, s[10:11]
	s_waitcnt vmcnt(0)
	v_fmac_f32_e32 v1, v6, v6
	s_andn2_b64 exec, exec, s[10:11]
	s_cbranch_execnz .LBB3_10
; %bb.11:
	s_or_b64 exec, exec, s[10:11]
.LBB3_12:
	s_or_b64 exec, exec, s[12:13]
	s_branch .LBB3_19
.LBB3_13:
                                        ; implicit-def: $vgpr1
	s_cbranch_execz .LBB3_19
; %bb.14:
	s_ashr_i32 s12, s7, 1
	v_cmp_gt_i32_e32 vcc, s12, v0
	v_mov_b32_e32 v1, 0
	s_and_saveexec_b64 s[10:11], vcc
	s_cbranch_execz .LBB3_18
; %bb.15:
	s_add_u32 s0, s0, s8
	v_lshlrev_b32_e32 v1, 3, v0
	s_addc_u32 s1, s1, s9
	v_mov_b32_e32 v2, s1
	v_add_co_u32_e32 v1, vcc, s0, v1
	v_addc_co_u32_e32 v3, vcc, 0, v2, vcc
	s_mov_b32 s13, 0
	v_add_co_u32_e32 v2, vcc, 4, v1
	v_addc_co_u32_e32 v3, vcc, 0, v3, vcc
	s_lshl_b32 s8, s16, 3
	s_mov_b64 s[0:1], 0
	v_mov_b32_e32 v1, 0
	v_mov_b32_e32 v4, s13
	;; [unrolled: 1-line block ×3, first 2 shown]
.LBB3_16:                               ; =>This Inner Loop Header: Depth=1
	global_load_dwordx2 v[6:7], v[2:3], off offset:-4
	v_add_co_u32_e32 v2, vcc, s8, v2
	v_add_u32_e32 v5, s16, v5
	v_addc_co_u32_e32 v3, vcc, v3, v4, vcc
	v_cmp_le_i32_e32 vcc, s12, v5
	s_or_b64 s[0:1], vcc, s[0:1]
	s_waitcnt vmcnt(0)
	v_fmac_f32_e32 v1, v6, v6
	v_fmac_f32_e32 v1, v7, v7
	s_andn2_b64 exec, exec, s[0:1]
	s_cbranch_execnz .LBB3_16
; %bb.17:
	s_or_b64 exec, exec, s[0:1]
.LBB3_18:
	s_or_b64 exec, exec, s[10:11]
.LBB3_19:
	v_mbcnt_lo_u32_b32 v2, -1, 0
	v_mbcnt_hi_u32_b32 v2, -1, v2
	v_and_b32_e32 v3, 63, v2
	v_cmp_ne_u32_e32 vcc, 63, v3
	v_addc_co_u32_e32 v4, vcc, 0, v2, vcc
	v_lshlrev_b32_e32 v4, 2, v4
	ds_bpermute_b32 v4, v4, v1
	v_and_b32_e32 v5, 0x3c0, v0
	v_sub_u32_e64 v5, s16, v5 clamp
	v_add_u32_e32 v6, 1, v2
	v_cmp_lt_u32_e32 vcc, v6, v5
	s_waitcnt lgkmcnt(0)
	v_add_f32_e32 v4, v1, v4
	v_cndmask_b32_e32 v1, v1, v4, vcc
	v_cmp_gt_u32_e32 vcc, 62, v3
	v_cndmask_b32_e64 v4, 0, 1, vcc
	v_lshlrev_b32_e32 v4, 1, v4
	v_add_lshl_u32 v4, v4, v2, 2
	ds_bpermute_b32 v4, v4, v1
	v_add_u32_e32 v6, 2, v2
	v_cmp_lt_u32_e32 vcc, v6, v5
	v_add_u32_e32 v6, 4, v2
	s_waitcnt lgkmcnt(0)
	v_add_f32_e32 v4, v1, v4
	v_cndmask_b32_e32 v1, v1, v4, vcc
	v_cmp_gt_u32_e32 vcc, 60, v3
	v_cndmask_b32_e64 v4, 0, 1, vcc
	v_lshlrev_b32_e32 v4, 2, v4
	v_add_lshl_u32 v4, v4, v2, 2
	ds_bpermute_b32 v4, v4, v1
	v_cmp_lt_u32_e32 vcc, v6, v5
	v_add_u32_e32 v6, 8, v2
	s_waitcnt lgkmcnt(0)
	v_add_f32_e32 v4, v1, v4
	v_cndmask_b32_e32 v1, v1, v4, vcc
	v_cmp_gt_u32_e32 vcc, 56, v3
	v_cndmask_b32_e64 v4, 0, 1, vcc
	v_lshlrev_b32_e32 v4, 3, v4
	v_add_lshl_u32 v4, v4, v2, 2
	ds_bpermute_b32 v4, v4, v1
	;; [unrolled: 10-line block ×3, first 2 shown]
	v_cmp_lt_u32_e32 vcc, v6, v5
	s_waitcnt lgkmcnt(0)
	v_add_f32_e32 v4, v1, v4
	v_cndmask_b32_e32 v1, v1, v4, vcc
	v_cmp_gt_u32_e32 vcc, 32, v3
	v_cndmask_b32_e64 v3, 0, 1, vcc
	v_lshlrev_b32_e32 v3, 5, v3
	v_add_lshl_u32 v3, v3, v2, 2
	ds_bpermute_b32 v3, v3, v1
	v_add_u32_e32 v4, 32, v2
	v_cmp_lt_u32_e32 vcc, v4, v5
	s_waitcnt lgkmcnt(0)
	v_add_f32_e32 v3, v1, v3
	v_cndmask_b32_e32 v1, v1, v3, vcc
	v_cmp_eq_u32_e32 vcc, 0, v2
	s_and_saveexec_b64 s[0:1], vcc
	s_cbranch_execz .LBB3_21
; %bb.20:
	v_lshrrev_b32_e32 v3, 4, v0
	v_and_b32_e32 v3, 60, v3
	ds_write_b32 v3, v1
.LBB3_21:
	s_or_b64 exec, exec, s[0:1]
	v_cmp_gt_u32_e32 vcc, 16, v0
	s_waitcnt lgkmcnt(0)
	s_barrier
	s_and_saveexec_b64 s[8:9], vcc
	s_cbranch_execz .LBB3_23
; %bb.22:
	v_lshlrev_b32_e32 v1, 2, v2
	ds_read_b32 v1, v1
	v_and_b32_e32 v3, 15, v2
	v_cmp_ne_u32_e32 vcc, 15, v3
	v_addc_co_u32_e32 v4, vcc, 0, v2, vcc
	v_lshlrev_b32_e32 v4, 2, v4
	s_waitcnt lgkmcnt(0)
	ds_bpermute_b32 v4, v4, v1
	s_add_i32 s0, s16, 63
	s_lshr_b32 s10, s0, 6
	v_add_u32_e32 v5, 1, v3
	v_cmp_gt_u32_e64 s[0:1], 14, v3
	v_cmp_gt_u32_e32 vcc, s10, v5
	v_cndmask_b32_e64 v5, 0, 1, s[0:1]
	s_waitcnt lgkmcnt(0)
	v_add_f32_e32 v4, v1, v4
	v_lshlrev_b32_e32 v5, 1, v5
	v_cndmask_b32_e32 v4, v1, v4, vcc
	v_add_lshl_u32 v5, v5, v2, 2
	ds_bpermute_b32 v5, v5, v4
	v_add_u32_e32 v6, 2, v3
	v_cmp_gt_u32_e64 s[0:1], s10, v6
	v_add_u32_e32 v6, 4, v3
	s_waitcnt lgkmcnt(0)
	v_add_f32_e32 v5, v4, v5
	v_cndmask_b32_e64 v4, v4, v5, s[0:1]
	v_cmp_gt_u32_e64 s[0:1], 12, v3
	v_cndmask_b32_e64 v5, 0, 1, s[0:1]
	v_lshlrev_b32_e32 v5, 2, v5
	v_add_lshl_u32 v5, v5, v2, 2
	ds_bpermute_b32 v5, v5, v4
	v_cmp_gt_u32_e64 s[0:1], s10, v6
	s_waitcnt lgkmcnt(0)
	v_add_f32_e32 v5, v4, v5
	v_cndmask_b32_e64 v4, v4, v5, s[0:1]
	v_cmp_gt_u32_e64 s[0:1], 8, v3
	v_cndmask_b32_e64 v5, 0, 1, s[0:1]
	v_lshlrev_b32_e32 v5, 3, v5
	v_add_lshl_u32 v2, v5, v2, 2
	ds_bpermute_b32 v2, v2, v4
	v_add_u32_e32 v3, 8, v3
	v_cmp_gt_u32_e64 s[0:1], s10, v3
	s_waitcnt lgkmcnt(0)
	v_add_f32_e32 v2, v4, v2
	v_cndmask_b32_e64 v2, v4, v2, s[0:1]
	v_cndmask_b32_e32 v1, v1, v2, vcc
.LBB3_23:
	s_or_b64 exec, exec, s[8:9]
	v_cmp_eq_u32_e32 vcc, 0, v0
	s_and_saveexec_b64 s[0:1], vcc
	s_cbranch_execz .LBB3_25
; %bb.24:
	v_cvt_f32_i32_e32 v2, s7
	s_load_dword s10, s[4:5], 0x40
	v_div_scale_f32 v3, s[8:9], v2, v2, v1
	v_rcp_f32_e32 v4, v3
	v_div_scale_f32 v5, vcc, v1, v2, v1
	s_mov_b32 s8, 0x800000
	v_fma_f32 v6, -v3, v4, 1.0
	v_fmac_f32_e32 v4, v6, v4
	v_mul_f32_e32 v6, v5, v4
	v_fma_f32 v7, -v3, v6, v5
	v_fmac_f32_e32 v6, v7, v4
	v_fma_f32 v3, -v3, v6, v5
	v_div_fmas_f32 v3, v3, v4, v6
	v_div_fixup_f32 v1, v3, v2, v1
	s_waitcnt lgkmcnt(0)
	v_add_f32_e32 v1, s10, v1
	v_mul_f32_e32 v2, 0x4b800000, v1
	v_cmp_gt_f32_e32 vcc, s8, v1
	v_cndmask_b32_e32 v1, v1, v2, vcc
	v_rsq_f32_e32 v1, v1
	v_mul_f32_e32 v2, 0x45800000, v1
	v_cndmask_b32_e32 v1, v1, v2, vcc
	v_mov_b32_e32 v2, 0
	ds_write_b32 v2, v1 offset:64
.LBB3_25:
	s_or_b64 exec, exec, s[0:1]
	s_lshr_b32 s0, s7, 31
	s_add_i32 s0, s7, s0
	s_ashr_i32 s12, s0, 1
	v_cmp_gt_i32_e32 vcc, s12, v0
	s_waitcnt lgkmcnt(0)
	s_barrier
	s_and_saveexec_b64 s[0:1], vcc
	s_cbranch_execz .LBB3_35
; %bb.26:
	v_cvt_f32_u32_e32 v1, s16
	s_load_dwordx2 s[0:1], s[4:5], 0x0
	s_load_dwordx2 s[8:9], s[4:5], 0x38
	s_mul_i32 s4, s6, s7
	s_mov_b32 s5, 0
	v_rcp_iflag_f32_e32 v1, v1
	s_lshl_b64 s[4:5], s[4:5], 2
	v_add_u32_e32 v3, s16, v0
	s_waitcnt lgkmcnt(0)
	s_add_u32 s13, s0, s4
	v_mul_f32_e32 v1, 0x4f7ffffe, v1
	v_cvt_u32_f32_e32 v1, v1
	v_mov_b32_e32 v5, s16
	v_cmp_gt_i32_e32 vcc, s12, v3
	s_addc_u32 s14, s1, s5
	v_max_i32_e32 v4, s12, v3
	v_addc_co_u32_e64 v3, s[0:1], v0, v5, vcc
	s_sub_i32 s0, 0, s16
	v_sub_u32_e32 v3, v4, v3
	v_mul_lo_u32 v4, s0, v1
	v_mul_hi_u32 v4, v1, v4
	v_add_u32_e32 v1, v1, v4
	v_mul_hi_u32 v1, v3, v1
	v_mul_lo_u32 v4, v1, s16
	v_sub_u32_e32 v3, v3, v4
	v_add_u32_e32 v4, 1, v1
	v_cmp_le_u32_e64 s[0:1], s16, v3
	v_cndmask_b32_e64 v1, v1, v4, s[0:1]
	v_subrev_u32_e32 v4, s16, v3
	v_mov_b32_e32 v2, 0
	v_cndmask_b32_e64 v3, v3, v4, s[0:1]
	ds_read_b32 v2, v2 offset:64
	v_add_u32_e32 v4, 1, v1
	v_cmp_le_u32_e64 s[0:1], s16, v3
	v_cndmask_b32_e64 v1, v1, v4, s[0:1]
	v_addc_co_u32_e32 v8, vcc, 1, v1, vcc
	s_cmp_lg_u32 s16, 1
	v_cmp_gt_u32_e32 vcc, 2, v8
	s_cselect_b64 s[0:1], -1, 0
	s_or_b64 s[0:1], vcc, s[0:1]
	s_mov_b64 s[4:5], 0
	s_and_saveexec_b64 s[6:7], s[0:1]
	s_xor_b64 s[0:1], exec, s[6:7]
	s_cbranch_execnz .LBB3_29
; %bb.27:
	s_andn2_saveexec_b64 s[6:7], s[0:1]
	s_cbranch_execnz .LBB3_30
.LBB3_28:
	s_or_b64 exec, exec, s[6:7]
	s_and_b64 exec, exec, s[4:5]
	s_cbranch_execnz .LBB3_33
	s_branch .LBB3_35
.LBB3_29:
	s_mov_b64 s[4:5], exec
                                        ; implicit-def: $vgpr8
	s_andn2_saveexec_b64 s[6:7], s[0:1]
	s_cbranch_execz .LBB3_28
.LBB3_30:
	v_and_b32_e32 v9, -2, v8
	v_add_u32_e32 v1, 1, v0
	s_waitcnt lgkmcnt(0)
	v_mov_b32_e32 v3, v2
	s_mov_b64 s[10:11], 0
	v_mov_b32_e32 v10, s3
	v_mov_b32_e32 v11, s9
	;; [unrolled: 1-line block ×5, first 2 shown]
	v_pk_mov_b32 v[6:7], v[0:1], v[0:1] op_sel:[0,1]
.LBB3_31:                               ; =>This Inner Loop Header: Depth=1
	v_mov_b32_e32 v4, v6
	v_lshlrev_b64 v[14:15], 3, v[4:5]
	v_add_co_u32_e32 v16, vcc, s2, v14
	v_addc_co_u32_e32 v17, vcc, v10, v15, vcc
	v_mov_b32_e32 v4, v7
	v_add_co_u32_e32 v20, vcc, s8, v14
	v_lshlrev_b64 v[18:19], 3, v[4:5]
	v_addc_co_u32_e32 v21, vcc, v11, v15, vcc
	v_add_co_u32_e32 v22, vcc, s2, v18
	v_addc_co_u32_e32 v23, vcc, v10, v19, vcc
	v_add_co_u32_e32 v24, vcc, s8, v18
	v_addc_co_u32_e32 v25, vcc, v11, v19, vcc
	global_load_dwordx2 v[26:27], v[16:17], off
	global_load_dwordx2 v[28:29], v[20:21], off
	global_load_dwordx2 v[30:31], v[22:23], off
	global_load_dwordx2 v[32:33], v[24:25], off
	v_add_u32_e32 v13, -2, v13
	v_cmp_eq_u32_e32 vcc, 0, v13
	s_or_b64 s[10:11], vcc, s[10:11]
	v_add_co_u32_e32 v16, vcc, s13, v18
	v_addc_co_u32_e32 v17, vcc, v12, v19, vcc
	v_add_co_u32_e64 v14, s[0:1], s13, v14
	v_add_u32_e32 v6, 2, v6
	v_add_u32_e32 v7, 2, v7
	v_addc_co_u32_e64 v15, s[0:1], v12, v15, s[0:1]
	s_waitcnt vmcnt(3)
	v_mov_b32_e32 v18, v26
	s_waitcnt vmcnt(2)
	v_mov_b32_e32 v20, v28
	;; [unrolled: 2-line block ×3, first 2 shown]
	v_mov_b32_e32 v30, v27
	s_waitcnt vmcnt(0)
	v_mov_b32_e32 v21, v32
	v_mov_b32_e32 v32, v29
	v_pk_mul_f32 v[18:19], v[18:19], v[2:3]
	v_pk_mul_f32 v[22:23], v[30:31], v[2:3]
	v_pk_mul_f32 v[18:19], v[18:19], v[20:21]
	v_pk_mul_f32 v[20:21], v[22:23], v[32:33]
	v_mov_b32_e32 v22, v18
	v_mov_b32_e32 v23, v20
	;; [unrolled: 1-line block ×3, first 2 shown]
	global_store_dwordx2 v[14:15], v[22:23], off
	global_store_dwordx2 v[16:17], v[20:21], off
	s_andn2_b64 exec, exec, s[10:11]
	s_cbranch_execnz .LBB3_31
; %bb.32:
	s_or_b64 exec, exec, s[10:11]
	v_cmp_ne_u32_e32 vcc, v8, v9
	s_andn2_b64 s[0:1], s[4:5], exec
	s_and_b64 s[4:5], vcc, exec
	v_add_u32_e32 v0, v0, v9
	s_or_b64 s[4:5], s[0:1], s[4:5]
	s_or_b64 exec, exec, s[6:7]
	s_and_b64 exec, exec, s[4:5]
	s_cbranch_execz .LBB3_35
.LBB3_33:
	s_mov_b32 s5, 0
	v_mov_b32_e32 v1, 0
	s_waitcnt lgkmcnt(0)
	v_mov_b32_e32 v3, v2
	v_lshlrev_b64 v[4:5], 3, v[0:1]
	s_lshl_b32 s4, s16, 3
	s_mov_b64 s[0:1], 0
	v_mov_b32_e32 v1, s3
	v_mov_b32_e32 v6, s9
	;; [unrolled: 1-line block ×4, first 2 shown]
.LBB3_34:                               ; =>This Inner Loop Header: Depth=1
	v_add_co_u32_e32 v10, vcc, s2, v4
	v_addc_co_u32_e32 v11, vcc, v1, v5, vcc
	v_add_co_u32_e32 v12, vcc, s8, v4
	v_addc_co_u32_e32 v13, vcc, v6, v5, vcc
	global_load_dwordx2 v[14:15], v[10:11], off
	global_load_dwordx2 v[16:17], v[12:13], off
	v_add_co_u32_e32 v10, vcc, s13, v4
	v_addc_co_u32_e32 v11, vcc, v7, v5, vcc
	v_add_co_u32_e32 v4, vcc, s4, v4
	v_add_u32_e32 v0, s16, v0
	v_addc_co_u32_e32 v5, vcc, v5, v8, vcc
	v_cmp_le_i32_e32 vcc, s12, v0
	s_or_b64 s[0:1], vcc, s[0:1]
	s_waitcnt vmcnt(1)
	v_pk_mul_f32 v[12:13], v[14:15], v[2:3]
	s_waitcnt vmcnt(0)
	v_pk_mul_f32 v[12:13], v[12:13], v[16:17]
	global_store_dwordx2 v[10:11], v[12:13], off
	s_andn2_b64 exec, exec, s[0:1]
	s_cbranch_execnz .LBB3_34
.LBB3_35:
	s_endpgm
	.section	.rodata,"a",@progbits
	.p2align	6, 0x0
	.amdhsa_kernel _ZN4vllm15rms_norm_kernelIfLi2ELi2EEEvPT_PKS1_lllllS4_fii
		.amdhsa_group_segment_fixed_size 68
		.amdhsa_private_segment_fixed_size 0
		.amdhsa_kernarg_size 336
		.amdhsa_user_sgpr_count 6
		.amdhsa_user_sgpr_private_segment_buffer 1
		.amdhsa_user_sgpr_dispatch_ptr 0
		.amdhsa_user_sgpr_queue_ptr 0
		.amdhsa_user_sgpr_kernarg_segment_ptr 1
		.amdhsa_user_sgpr_dispatch_id 0
		.amdhsa_user_sgpr_flat_scratch_init 0
		.amdhsa_user_sgpr_kernarg_preload_length 0
		.amdhsa_user_sgpr_kernarg_preload_offset 0
		.amdhsa_user_sgpr_private_segment_size 0
		.amdhsa_uses_dynamic_stack 0
		.amdhsa_system_sgpr_private_segment_wavefront_offset 0
		.amdhsa_system_sgpr_workgroup_id_x 1
		.amdhsa_system_sgpr_workgroup_id_y 0
		.amdhsa_system_sgpr_workgroup_id_z 0
		.amdhsa_system_sgpr_workgroup_info 0
		.amdhsa_system_vgpr_workitem_id 0
		.amdhsa_next_free_vgpr 34
		.amdhsa_next_free_sgpr 21
		.amdhsa_accum_offset 36
		.amdhsa_reserve_vcc 1
		.amdhsa_reserve_flat_scratch 0
		.amdhsa_float_round_mode_32 0
		.amdhsa_float_round_mode_16_64 0
		.amdhsa_float_denorm_mode_32 3
		.amdhsa_float_denorm_mode_16_64 3
		.amdhsa_dx10_clamp 1
		.amdhsa_ieee_mode 1
		.amdhsa_fp16_overflow 0
		.amdhsa_tg_split 0
		.amdhsa_exception_fp_ieee_invalid_op 0
		.amdhsa_exception_fp_denorm_src 0
		.amdhsa_exception_fp_ieee_div_zero 0
		.amdhsa_exception_fp_ieee_overflow 0
		.amdhsa_exception_fp_ieee_underflow 0
		.amdhsa_exception_fp_ieee_inexact 0
		.amdhsa_exception_int_div_zero 0
	.end_amdhsa_kernel
	.section	.text._ZN4vllm15rms_norm_kernelIfLi2ELi2EEEvPT_PKS1_lllllS4_fii,"axG",@progbits,_ZN4vllm15rms_norm_kernelIfLi2ELi2EEEvPT_PKS1_lllllS4_fii,comdat
.Lfunc_end3:
	.size	_ZN4vllm15rms_norm_kernelIfLi2ELi2EEEvPT_PKS1_lllllS4_fii, .Lfunc_end3-_ZN4vllm15rms_norm_kernelIfLi2ELi2EEEvPT_PKS1_lllllS4_fii
                                        ; -- End function
	.section	.AMDGPU.csdata,"",@progbits
; Kernel info:
; codeLenInByte = 2208
; NumSgprs: 25
; NumVgprs: 34
; NumAgprs: 0
; TotalNumVgprs: 34
; ScratchSize: 0
; MemoryBound: 0
; FloatMode: 240
; IeeeMode: 1
; LDSByteSize: 68 bytes/workgroup (compile time only)
; SGPRBlocks: 3
; VGPRBlocks: 4
; NumSGPRsForWavesPerEU: 25
; NumVGPRsForWavesPerEU: 34
; AccumOffset: 36
; Occupancy: 8
; WaveLimiterHint : 0
; COMPUTE_PGM_RSRC2:SCRATCH_EN: 0
; COMPUTE_PGM_RSRC2:USER_SGPR: 6
; COMPUTE_PGM_RSRC2:TRAP_HANDLER: 0
; COMPUTE_PGM_RSRC2:TGID_X_EN: 1
; COMPUTE_PGM_RSRC2:TGID_Y_EN: 0
; COMPUTE_PGM_RSRC2:TGID_Z_EN: 0
; COMPUTE_PGM_RSRC2:TIDIG_COMP_CNT: 0
; COMPUTE_PGM_RSRC3_GFX90A:ACCUM_OFFSET: 8
; COMPUTE_PGM_RSRC3_GFX90A:TG_SPLIT: 0
	.section	.text._ZN4vllm15rms_norm_kernelIfLi1ELi2EEEvPT_PKS1_lllllS4_fii,"axG",@progbits,_ZN4vllm15rms_norm_kernelIfLi1ELi2EEEvPT_PKS1_lllllS4_fii,comdat
	.protected	_ZN4vllm15rms_norm_kernelIfLi1ELi2EEEvPT_PKS1_lllllS4_fii ; -- Begin function _ZN4vllm15rms_norm_kernelIfLi1ELi2EEEvPT_PKS1_lllllS4_fii
	.globl	_ZN4vllm15rms_norm_kernelIfLi1ELi2EEEvPT_PKS1_lllllS4_fii
	.p2align	8
	.type	_ZN4vllm15rms_norm_kernelIfLi1ELi2EEEvPT_PKS1_lllllS4_fii,@function
_ZN4vllm15rms_norm_kernelIfLi1ELi2EEEvPT_PKS1_lllllS4_fii: ; @_ZN4vllm15rms_norm_kernelIfLi1ELi2EEEvPT_PKS1_lllllS4_fii
; %bb.0:
	s_load_dwordx4 s[8:11], s[4:5], 0x8
	s_load_dword s7, s[4:5], 0x48
	s_load_dword s13, s[4:5], 0x5c
	s_waitcnt lgkmcnt(0)
	s_mul_i32 s0, s6, s11
	s_mul_hi_u32 s1, s6, s10
	s_add_i32 s1, s1, s0
	s_mul_i32 s0, s6, s10
	s_lshl_b64 s[2:3], s[0:1], 2
	s_add_u32 s12, s8, s2
	s_addc_u32 s14, s9, s3
	s_and_b32 s13, s13, 0xffff
	s_and_b32 s0, s12, 3
	s_mov_b32 s1, 0
	s_cmp_lg_u64 s[0:1], 0
	s_cbranch_scc0 .LBB4_6
; %bb.1:
	s_min_i32 s10, s7, 0
	s_sub_i32 s15, s7, s10
	v_cmp_gt_i32_e32 vcc, s15, v0
	v_mov_b32_e32 v4, 0
	s_and_saveexec_b64 s[0:1], vcc
	s_cbranch_execz .LBB4_5
; %bb.2:
	s_ashr_i32 s11, s10, 31
	s_lshl_b64 s[10:11], s[10:11], 2
	s_add_u32 s10, s2, s10
	s_addc_u32 s11, s3, s11
	s_add_u32 s10, s8, s10
	v_lshlrev_b32_e32 v1, 2, v0
	s_addc_u32 s11, s9, s11
	s_mov_b32 s17, 0
	v_mov_b32_e32 v3, s11
	v_add_co_u32_e32 v2, vcc, s10, v1
	v_addc_co_u32_e32 v3, vcc, 0, v3, vcc
	s_lshl_b32 s16, s13, 2
	s_mov_b64 s[10:11], 0
	v_mov_b32_e32 v4, 0
	v_mov_b32_e32 v1, s17
	;; [unrolled: 1-line block ×3, first 2 shown]
.LBB4_3:                                ; =>This Inner Loop Header: Depth=1
	global_load_dword v6, v[2:3], off
	v_add_co_u32_e32 v2, vcc, s16, v2
	v_add_u32_e32 v5, s13, v5
	v_addc_co_u32_e32 v3, vcc, v3, v1, vcc
	v_cmp_le_i32_e32 vcc, s15, v5
	s_or_b64 s[10:11], vcc, s[10:11]
	s_waitcnt vmcnt(0)
	v_fmac_f32_e32 v4, v6, v6
	s_andn2_b64 exec, exec, s[10:11]
	s_cbranch_execnz .LBB4_3
; %bb.4:
	s_or_b64 exec, exec, s[10:11]
.LBB4_5:
	s_or_b64 exec, exec, s[0:1]
	v_cmp_gt_i32_e64 s[0:1], s7, v0
	s_cbranch_execz .LBB4_7
	s_branch .LBB4_12
.LBB4_6:
                                        ; implicit-def: $vgpr4
	v_cmp_gt_i32_e64 s[0:1], s7, v0
.LBB4_7:
	v_mov_b32_e32 v4, 0
	s_and_saveexec_b64 s[10:11], s[0:1]
	s_cbranch_execz .LBB4_11
; %bb.8:
	s_add_u32 s0, s8, s2
	v_lshlrev_b32_e32 v1, 2, v0
	s_addc_u32 s1, s9, s3
	s_mov_b32 s15, 0
	v_mov_b32_e32 v3, s1
	v_add_co_u32_e32 v2, vcc, s0, v1
	v_addc_co_u32_e32 v3, vcc, 0, v3, vcc
	s_lshl_b32 s2, s13, 2
	s_mov_b64 s[0:1], 0
	v_mov_b32_e32 v4, 0
	v_mov_b32_e32 v1, s15
	;; [unrolled: 1-line block ×3, first 2 shown]
.LBB4_9:                                ; =>This Inner Loop Header: Depth=1
	global_load_dword v6, v[2:3], off
	v_add_co_u32_e32 v2, vcc, s2, v2
	v_add_u32_e32 v5, s13, v5
	v_addc_co_u32_e32 v3, vcc, v3, v1, vcc
	v_cmp_le_i32_e32 vcc, s7, v5
	s_or_b64 s[0:1], vcc, s[0:1]
	s_waitcnt vmcnt(0)
	v_fmac_f32_e32 v4, v6, v6
	s_andn2_b64 exec, exec, s[0:1]
	s_cbranch_execnz .LBB4_9
; %bb.10:
	s_or_b64 exec, exec, s[0:1]
.LBB4_11:
	s_or_b64 exec, exec, s[10:11]
.LBB4_12:
	v_mbcnt_lo_u32_b32 v1, -1, 0
	v_mbcnt_hi_u32_b32 v1, -1, v1
	v_and_b32_e32 v2, 63, v1
	v_cmp_ne_u32_e32 vcc, 63, v2
	v_addc_co_u32_e32 v3, vcc, 0, v1, vcc
	v_lshlrev_b32_e32 v3, 2, v3
	ds_bpermute_b32 v3, v3, v4
	v_and_b32_e32 v5, 0x3c0, v0
	v_sub_u32_e64 v5, s13, v5 clamp
	v_add_u32_e32 v6, 1, v1
	v_cmp_lt_u32_e32 vcc, v6, v5
	s_waitcnt lgkmcnt(0)
	v_add_f32_e32 v3, v4, v3
	v_cndmask_b32_e32 v3, v4, v3, vcc
	v_cmp_gt_u32_e32 vcc, 62, v2
	v_cndmask_b32_e64 v4, 0, 1, vcc
	v_lshlrev_b32_e32 v4, 1, v4
	v_add_lshl_u32 v4, v4, v1, 2
	ds_bpermute_b32 v4, v4, v3
	v_add_u32_e32 v6, 2, v1
	v_cmp_lt_u32_e32 vcc, v6, v5
	v_add_u32_e32 v6, 4, v1
	s_waitcnt lgkmcnt(0)
	v_add_f32_e32 v4, v3, v4
	v_cndmask_b32_e32 v3, v3, v4, vcc
	v_cmp_gt_u32_e32 vcc, 60, v2
	v_cndmask_b32_e64 v4, 0, 1, vcc
	v_lshlrev_b32_e32 v4, 2, v4
	v_add_lshl_u32 v4, v4, v1, 2
	ds_bpermute_b32 v4, v4, v3
	v_cmp_lt_u32_e32 vcc, v6, v5
	v_add_u32_e32 v6, 8, v1
	s_waitcnt lgkmcnt(0)
	v_add_f32_e32 v4, v3, v4
	v_cndmask_b32_e32 v3, v3, v4, vcc
	v_cmp_gt_u32_e32 vcc, 56, v2
	v_cndmask_b32_e64 v4, 0, 1, vcc
	v_lshlrev_b32_e32 v4, 3, v4
	v_add_lshl_u32 v4, v4, v1, 2
	ds_bpermute_b32 v4, v4, v3
	;; [unrolled: 10-line block ×3, first 2 shown]
	v_cmp_lt_u32_e32 vcc, v6, v5
	s_waitcnt lgkmcnt(0)
	v_add_f32_e32 v4, v3, v4
	v_cndmask_b32_e32 v3, v3, v4, vcc
	v_cmp_gt_u32_e32 vcc, 32, v2
	v_cndmask_b32_e64 v2, 0, 1, vcc
	v_lshlrev_b32_e32 v2, 5, v2
	v_add_lshl_u32 v2, v2, v1, 2
	ds_bpermute_b32 v2, v2, v3
	v_add_u32_e32 v4, 32, v1
	v_cmp_lt_u32_e32 vcc, v4, v5
	s_waitcnt lgkmcnt(0)
	v_add_f32_e32 v2, v3, v2
	v_cndmask_b32_e32 v2, v3, v2, vcc
	v_cmp_eq_u32_e32 vcc, 0, v1
	s_and_saveexec_b64 s[0:1], vcc
	s_cbranch_execz .LBB4_14
; %bb.13:
	v_lshrrev_b32_e32 v3, 4, v0
	v_and_b32_e32 v3, 60, v3
	ds_write_b32 v3, v2
.LBB4_14:
	s_or_b64 exec, exec, s[0:1]
	v_cmp_gt_u32_e32 vcc, 16, v0
	s_waitcnt lgkmcnt(0)
	s_barrier
	s_and_saveexec_b64 s[2:3], vcc
	s_cbranch_execz .LBB4_16
; %bb.15:
	v_lshlrev_b32_e32 v2, 2, v1
	ds_read_b32 v2, v2
	v_and_b32_e32 v3, 15, v1
	v_cmp_ne_u32_e32 vcc, 15, v3
	v_addc_co_u32_e32 v4, vcc, 0, v1, vcc
	v_lshlrev_b32_e32 v4, 2, v4
	s_waitcnt lgkmcnt(0)
	ds_bpermute_b32 v4, v4, v2
	s_add_i32 s0, s13, 63
	s_lshr_b32 s8, s0, 6
	v_add_u32_e32 v5, 1, v3
	v_cmp_gt_u32_e64 s[0:1], 14, v3
	v_cmp_gt_u32_e32 vcc, s8, v5
	v_cndmask_b32_e64 v5, 0, 1, s[0:1]
	s_waitcnt lgkmcnt(0)
	v_add_f32_e32 v4, v2, v4
	v_lshlrev_b32_e32 v5, 1, v5
	v_cndmask_b32_e32 v4, v2, v4, vcc
	v_add_lshl_u32 v5, v5, v1, 2
	ds_bpermute_b32 v5, v5, v4
	v_add_u32_e32 v6, 2, v3
	v_cmp_gt_u32_e64 s[0:1], s8, v6
	v_add_u32_e32 v6, 4, v3
	s_waitcnt lgkmcnt(0)
	v_add_f32_e32 v5, v4, v5
	v_cndmask_b32_e64 v4, v4, v5, s[0:1]
	v_cmp_gt_u32_e64 s[0:1], 12, v3
	v_cndmask_b32_e64 v5, 0, 1, s[0:1]
	v_lshlrev_b32_e32 v5, 2, v5
	v_add_lshl_u32 v5, v5, v1, 2
	ds_bpermute_b32 v5, v5, v4
	v_cmp_gt_u32_e64 s[0:1], s8, v6
	s_waitcnt lgkmcnt(0)
	v_add_f32_e32 v5, v4, v5
	v_cndmask_b32_e64 v4, v4, v5, s[0:1]
	v_cmp_gt_u32_e64 s[0:1], 8, v3
	v_cndmask_b32_e64 v5, 0, 1, s[0:1]
	v_lshlrev_b32_e32 v5, 3, v5
	v_add_lshl_u32 v1, v5, v1, 2
	ds_bpermute_b32 v1, v1, v4
	v_add_u32_e32 v3, 8, v3
	v_cmp_gt_u32_e64 s[0:1], s8, v3
	s_waitcnt lgkmcnt(0)
	v_add_f32_e32 v1, v4, v1
	v_cndmask_b32_e64 v1, v4, v1, s[0:1]
	v_cndmask_b32_e32 v2, v2, v1, vcc
.LBB4_16:
	s_or_b64 exec, exec, s[2:3]
	v_cmp_eq_u32_e32 vcc, 0, v0
	s_and_saveexec_b64 s[0:1], vcc
	s_cbranch_execz .LBB4_18
; %bb.17:
	v_cvt_f32_i32_e32 v1, s7
	s_load_dword s8, s[4:5], 0x40
	v_div_scale_f32 v3, s[2:3], v1, v1, v2
	v_rcp_f32_e32 v4, v3
	v_div_scale_f32 v5, vcc, v2, v1, v2
	s_mov_b32 s2, 0x800000
	v_fma_f32 v6, -v3, v4, 1.0
	v_fmac_f32_e32 v4, v6, v4
	v_mul_f32_e32 v6, v5, v4
	v_fma_f32 v7, -v3, v6, v5
	v_fmac_f32_e32 v6, v7, v4
	v_fma_f32 v3, -v3, v6, v5
	v_div_fmas_f32 v3, v3, v4, v6
	v_div_fixup_f32 v1, v3, v1, v2
	s_waitcnt lgkmcnt(0)
	v_add_f32_e32 v1, s8, v1
	v_mul_f32_e32 v2, 0x4b800000, v1
	v_cmp_gt_f32_e32 vcc, s2, v1
	v_cndmask_b32_e32 v1, v1, v2, vcc
	v_rsq_f32_e32 v1, v1
	v_mul_f32_e32 v2, 0x45800000, v1
	v_cndmask_b32_e32 v1, v1, v2, vcc
	v_mov_b32_e32 v2, 0
	ds_write_b32 v2, v1 offset:64
.LBB4_18:
	s_or_b64 exec, exec, s[0:1]
	v_cmp_gt_i32_e32 vcc, s7, v0
	s_waitcnt lgkmcnt(0)
	s_barrier
	s_and_saveexec_b64 s[0:1], vcc
	s_cbranch_execz .LBB4_21
; %bb.19:
	s_load_dwordx2 s[2:3], s[4:5], 0x0
	s_load_dwordx2 s[0:1], s[4:5], 0x38
	v_mov_b32_e32 v1, 0
	s_mul_i32 s4, s6, s7
	s_mov_b32 s5, 0
	ds_read_b32 v2, v1 offset:64
	s_lshl_b64 s[4:5], s[4:5], 2
	s_waitcnt lgkmcnt(0)
	s_add_u32 s4, s2, s4
	s_addc_u32 s5, s3, s5
	s_mov_b64 s[2:3], 0
	v_mov_b32_e32 v3, s14
	v_mov_b32_e32 v4, s1
	;; [unrolled: 1-line block ×3, first 2 shown]
.LBB4_20:                               ; =>This Inner Loop Header: Depth=1
	v_ashrrev_i32_e32 v1, 31, v0
	v_lshlrev_b64 v[6:7], 2, v[0:1]
	v_add_co_u32_e32 v8, vcc, s12, v6
	v_addc_co_u32_e32 v9, vcc, v3, v7, vcc
	global_load_dword v1, v[8:9], off
	v_add_co_u32_e32 v8, vcc, s0, v6
	v_addc_co_u32_e32 v9, vcc, v4, v7, vcc
	global_load_dword v8, v[8:9], off
	v_add_co_u32_e32 v6, vcc, s4, v6
	v_add_u32_e32 v0, s13, v0
	v_addc_co_u32_e32 v7, vcc, v5, v7, vcc
	v_cmp_le_i32_e32 vcc, s7, v0
	s_or_b64 s[2:3], vcc, s[2:3]
	s_waitcnt vmcnt(1)
	v_mul_f32_e32 v1, v1, v2
	s_waitcnt vmcnt(0)
	v_mul_f32_e32 v1, v8, v1
	global_store_dword v[6:7], v1, off
	s_andn2_b64 exec, exec, s[2:3]
	s_cbranch_execnz .LBB4_20
.LBB4_21:
	s_endpgm
	.section	.rodata,"a",@progbits
	.p2align	6, 0x0
	.amdhsa_kernel _ZN4vllm15rms_norm_kernelIfLi1ELi2EEEvPT_PKS1_lllllS4_fii
		.amdhsa_group_segment_fixed_size 68
		.amdhsa_private_segment_fixed_size 0
		.amdhsa_kernarg_size 336
		.amdhsa_user_sgpr_count 6
		.amdhsa_user_sgpr_private_segment_buffer 1
		.amdhsa_user_sgpr_dispatch_ptr 0
		.amdhsa_user_sgpr_queue_ptr 0
		.amdhsa_user_sgpr_kernarg_segment_ptr 1
		.amdhsa_user_sgpr_dispatch_id 0
		.amdhsa_user_sgpr_flat_scratch_init 0
		.amdhsa_user_sgpr_kernarg_preload_length 0
		.amdhsa_user_sgpr_kernarg_preload_offset 0
		.amdhsa_user_sgpr_private_segment_size 0
		.amdhsa_uses_dynamic_stack 0
		.amdhsa_system_sgpr_private_segment_wavefront_offset 0
		.amdhsa_system_sgpr_workgroup_id_x 1
		.amdhsa_system_sgpr_workgroup_id_y 0
		.amdhsa_system_sgpr_workgroup_id_z 0
		.amdhsa_system_sgpr_workgroup_info 0
		.amdhsa_system_vgpr_workitem_id 0
		.amdhsa_next_free_vgpr 10
		.amdhsa_next_free_sgpr 18
		.amdhsa_accum_offset 12
		.amdhsa_reserve_vcc 1
		.amdhsa_reserve_flat_scratch 0
		.amdhsa_float_round_mode_32 0
		.amdhsa_float_round_mode_16_64 0
		.amdhsa_float_denorm_mode_32 3
		.amdhsa_float_denorm_mode_16_64 3
		.amdhsa_dx10_clamp 1
		.amdhsa_ieee_mode 1
		.amdhsa_fp16_overflow 0
		.amdhsa_tg_split 0
		.amdhsa_exception_fp_ieee_invalid_op 0
		.amdhsa_exception_fp_denorm_src 0
		.amdhsa_exception_fp_ieee_div_zero 0
		.amdhsa_exception_fp_ieee_overflow 0
		.amdhsa_exception_fp_ieee_underflow 0
		.amdhsa_exception_fp_ieee_inexact 0
		.amdhsa_exception_int_div_zero 0
	.end_amdhsa_kernel
	.section	.text._ZN4vllm15rms_norm_kernelIfLi1ELi2EEEvPT_PKS1_lllllS4_fii,"axG",@progbits,_ZN4vllm15rms_norm_kernelIfLi1ELi2EEEvPT_PKS1_lllllS4_fii,comdat
.Lfunc_end4:
	.size	_ZN4vllm15rms_norm_kernelIfLi1ELi2EEEvPT_PKS1_lllllS4_fii, .Lfunc_end4-_ZN4vllm15rms_norm_kernelIfLi1ELi2EEEvPT_PKS1_lllllS4_fii
                                        ; -- End function
	.section	.AMDGPU.csdata,"",@progbits
; Kernel info:
; codeLenInByte = 1360
; NumSgprs: 22
; NumVgprs: 10
; NumAgprs: 0
; TotalNumVgprs: 10
; ScratchSize: 0
; MemoryBound: 0
; FloatMode: 240
; IeeeMode: 1
; LDSByteSize: 68 bytes/workgroup (compile time only)
; SGPRBlocks: 2
; VGPRBlocks: 1
; NumSGPRsForWavesPerEU: 22
; NumVGPRsForWavesPerEU: 10
; AccumOffset: 12
; Occupancy: 8
; WaveLimiterHint : 0
; COMPUTE_PGM_RSRC2:SCRATCH_EN: 0
; COMPUTE_PGM_RSRC2:USER_SGPR: 6
; COMPUTE_PGM_RSRC2:TRAP_HANDLER: 0
; COMPUTE_PGM_RSRC2:TGID_X_EN: 1
; COMPUTE_PGM_RSRC2:TGID_Y_EN: 0
; COMPUTE_PGM_RSRC2:TGID_Z_EN: 0
; COMPUTE_PGM_RSRC2:TIDIG_COMP_CNT: 0
; COMPUTE_PGM_RSRC3_GFX90A:ACCUM_OFFSET: 2
; COMPUTE_PGM_RSRC3_GFX90A:TG_SPLIT: 0
	.section	.text._ZN4vllm15rms_norm_kernelIN3c104HalfELi16ELi2EEEvPT_PKS3_lllllS6_fii,"axG",@progbits,_ZN4vllm15rms_norm_kernelIN3c104HalfELi16ELi2EEEvPT_PKS3_lllllS6_fii,comdat
	.protected	_ZN4vllm15rms_norm_kernelIN3c104HalfELi16ELi2EEEvPT_PKS3_lllllS6_fii ; -- Begin function _ZN4vllm15rms_norm_kernelIN3c104HalfELi16ELi2EEEvPT_PKS3_lllllS6_fii
	.globl	_ZN4vllm15rms_norm_kernelIN3c104HalfELi16ELi2EEEvPT_PKS3_lllllS6_fii
	.p2align	8
	.type	_ZN4vllm15rms_norm_kernelIN3c104HalfELi16ELi2EEEvPT_PKS3_lllllS6_fii,@function
_ZN4vllm15rms_norm_kernelIN3c104HalfELi16ELi2EEEvPT_PKS3_lllllS6_fii: ; @_ZN4vllm15rms_norm_kernelIN3c104HalfELi16ELi2EEEvPT_PKS3_lllllS6_fii
; %bb.0:
	s_load_dwordx4 s[0:3], s[4:5], 0x8
	s_load_dword s16, s[4:5], 0x48
	s_load_dword s8, s[4:5], 0x5c
	s_mov_b32 s9, 0
	s_waitcnt lgkmcnt(0)
	s_mul_i32 s3, s6, s3
	s_mul_hi_u32 s7, s6, s2
	s_add_i32 s3, s7, s3
	s_mul_i32 s2, s6, s2
	s_lshl_b64 s[2:3], s[2:3], 1
	s_add_u32 s7, s0, s2
	s_addc_u32 s14, s1, s3
	s_and_b32 s15, s8, 0xffff
	s_and_b32 s8, s7, 31
	s_cmp_lg_u64 s[8:9], 0
	s_cselect_b64 s[8:9], -1, 0
	s_and_b32 s10, s16, 15
	s_cmp_lg_u32 s10, 0
	s_cselect_b64 s[10:11], -1, 0
	s_or_b64 s[8:9], s[8:9], s[10:11]
	s_and_b64 vcc, exec, s[8:9]
	s_cbranch_vccz .LBB5_14
; %bb.1:
	s_sub_i32 s8, 0, s7
	s_bfe_u32 s8, s8, 0x40001
	s_min_i32 s8, s8, s16
	v_cmp_gt_i32_e32 vcc, s8, v0
	v_mov_b32_e32 v1, 0
	s_and_saveexec_b64 s[10:11], vcc
	s_cbranch_execz .LBB5_5
; %bb.2:
	s_add_u32 s9, s0, s2
	v_lshlrev_b32_e32 v1, 1, v0
	s_addc_u32 s12, s1, s3
	s_mov_b32 s17, 0
	v_mov_b32_e32 v3, s12
	v_add_co_u32_e32 v2, vcc, s9, v1
	v_addc_co_u32_e32 v3, vcc, 0, v3, vcc
	s_lshl_b32 s9, s15, 1
	s_mov_b64 s[12:13], 0
	v_mov_b32_e32 v1, 0
	v_mov_b32_e32 v4, s17
	;; [unrolled: 1-line block ×3, first 2 shown]
.LBB5_3:                                ; =>This Inner Loop Header: Depth=1
	global_load_ushort v6, v[2:3], off
	v_add_co_u32_e32 v2, vcc, s9, v2
	v_add_u32_e32 v5, s15, v5
	v_addc_co_u32_e32 v3, vcc, v3, v4, vcc
	v_cmp_le_i32_e32 vcc, s8, v5
	s_or_b64 s[12:13], vcc, s[12:13]
	s_waitcnt vmcnt(0)
	v_fma_mix_f32 v1, v6, v6, v1 op_sel_hi:[1,1,0]
	s_andn2_b64 exec, exec, s[12:13]
	s_cbranch_execnz .LBB5_3
; %bb.4:
	s_or_b64 exec, exec, s[12:13]
.LBB5_5:
	s_or_b64 exec, exec, s[10:11]
	s_sub_i32 s17, s16, s8
	s_ashr_i32 s10, s17, 31
	s_lshr_b32 s10, s10, 28
	s_add_i32 s10, s17, s10
	s_ashr_i32 s18, s10, 4
	s_ashr_i32 s9, s8, 31
	v_cmp_gt_i32_e32 vcc, s18, v0
	s_and_saveexec_b64 s[10:11], vcc
	s_cbranch_execz .LBB5_9
; %bb.6:
	s_lshl_b64 s[12:13], s[8:9], 1
	s_add_u32 s12, s0, s12
	s_addc_u32 s13, s1, s13
	s_add_u32 s12, s12, s2
	v_lshlrev_b32_e32 v2, 5, v0
	s_addc_u32 s13, s13, s3
	s_mov_b32 s20, 0
	v_mov_b32_e32 v3, s13
	v_add_co_u32_e32 v2, vcc, s12, v2
	v_addc_co_u32_e32 v3, vcc, 0, v3, vcc
	s_lshl_b32 s19, s15, 5
	s_mov_b64 s[12:13], 0
	v_mov_b32_e32 v4, s20
	v_mov_b32_e32 v5, v0
.LBB5_7:                                ; =>This Inner Loop Header: Depth=1
	global_load_dwordx4 v[6:9], v[2:3], off
	global_load_dwordx4 v[10:13], v[2:3], off offset:16
	v_add_co_u32_e32 v2, vcc, s19, v2
	v_add_u32_e32 v5, s15, v5
	v_addc_co_u32_e32 v3, vcc, v3, v4, vcc
	v_cmp_le_i32_e32 vcc, s18, v5
	s_or_b64 s[12:13], vcc, s[12:13]
	s_waitcnt vmcnt(1)
	v_fma_mix_f32 v1, v6, v6, v1 op_sel_hi:[1,1,0]
	v_fma_mix_f32 v1, v6, v6, v1 op_sel:[1,1,0] op_sel_hi:[1,1,0]
	v_fma_mix_f32 v1, v7, v7, v1 op_sel_hi:[1,1,0]
	v_fma_mix_f32 v1, v7, v7, v1 op_sel:[1,1,0] op_sel_hi:[1,1,0]
	;; [unrolled: 2-line block ×4, first 2 shown]
	s_waitcnt vmcnt(0)
	v_fma_mix_f32 v1, v10, v10, v1 op_sel_hi:[1,1,0]
	v_fma_mix_f32 v1, v10, v10, v1 op_sel:[1,1,0] op_sel_hi:[1,1,0]
	v_fma_mix_f32 v1, v11, v11, v1 op_sel_hi:[1,1,0]
	v_fma_mix_f32 v1, v11, v11, v1 op_sel:[1,1,0] op_sel_hi:[1,1,0]
	;; [unrolled: 2-line block ×4, first 2 shown]
	s_andn2_b64 exec, exec, s[12:13]
	s_cbranch_execnz .LBB5_7
; %bb.8:
	s_or_b64 exec, exec, s[12:13]
.LBB5_9:
	s_or_b64 exec, exec, s[10:11]
	v_lshl_add_u32 v2, s18, 4, v0
	v_cmp_gt_i32_e32 vcc, s17, v2
	s_and_saveexec_b64 s[10:11], vcc
	s_cbranch_execz .LBB5_13
; %bb.10:
	s_lshl_b64 s[8:9], s[8:9], 1
	s_add_u32 s8, s2, s8
	s_addc_u32 s9, s3, s9
	v_ashrrev_i32_e32 v3, 31, v2
	s_add_u32 s8, s0, s8
	v_lshlrev_b64 v[4:5], 1, v[2:3]
	s_addc_u32 s9, s1, s9
	v_mov_b32_e32 v3, s9
	v_add_co_u32_e32 v4, vcc, s8, v4
	s_mov_b32 s13, 0
	v_addc_co_u32_e32 v5, vcc, v3, v5, vcc
	s_lshl_b32 s12, s15, 1
	s_mov_b64 s[8:9], 0
	v_mov_b32_e32 v3, s13
.LBB5_11:                               ; =>This Inner Loop Header: Depth=1
	global_load_ushort v6, v[4:5], off
	v_add_co_u32_e32 v4, vcc, s12, v4
	v_add_u32_e32 v2, s15, v2
	v_addc_co_u32_e32 v5, vcc, v5, v3, vcc
	v_cmp_le_i32_e32 vcc, s17, v2
	s_or_b64 s[8:9], vcc, s[8:9]
	s_waitcnt vmcnt(0)
	v_fma_mix_f32 v1, v6, v6, v1 op_sel_hi:[1,1,0]
	s_andn2_b64 exec, exec, s[8:9]
	s_cbranch_execnz .LBB5_11
; %bb.12:
	s_or_b64 exec, exec, s[8:9]
.LBB5_13:
	s_or_b64 exec, exec, s[10:11]
	s_branch .LBB5_20
.LBB5_14:
                                        ; implicit-def: $vgpr1
	s_cbranch_execz .LBB5_20
; %bb.15:
	s_ashr_i32 s10, s16, 4
	v_cmp_gt_i32_e32 vcc, s10, v0
	v_mov_b32_e32 v1, 0
	s_and_saveexec_b64 s[8:9], vcc
	s_cbranch_execz .LBB5_19
; %bb.16:
	s_add_u32 s0, s0, s2
	v_lshlrev_b32_e32 v1, 5, v0
	s_addc_u32 s1, s1, s3
	s_mov_b32 s11, 0
	v_mov_b32_e32 v3, s1
	v_add_co_u32_e32 v2, vcc, s0, v1
	v_addc_co_u32_e32 v3, vcc, 0, v3, vcc
	s_lshl_b32 s2, s15, 5
	s_mov_b64 s[0:1], 0
	v_mov_b32_e32 v1, 0
	v_mov_b32_e32 v4, s11
	;; [unrolled: 1-line block ×3, first 2 shown]
.LBB5_17:                               ; =>This Inner Loop Header: Depth=1
	global_load_dwordx4 v[6:9], v[2:3], off
	global_load_dwordx4 v[10:13], v[2:3], off offset:16
	v_add_co_u32_e32 v2, vcc, s2, v2
	v_add_u32_e32 v5, s15, v5
	v_addc_co_u32_e32 v3, vcc, v3, v4, vcc
	v_cmp_le_i32_e32 vcc, s10, v5
	s_or_b64 s[0:1], vcc, s[0:1]
	s_waitcnt vmcnt(1)
	v_fma_mix_f32 v1, v6, v6, v1 op_sel_hi:[1,1,0]
	v_fma_mix_f32 v1, v6, v6, v1 op_sel:[1,1,0] op_sel_hi:[1,1,0]
	v_fma_mix_f32 v1, v7, v7, v1 op_sel_hi:[1,1,0]
	v_fma_mix_f32 v1, v7, v7, v1 op_sel:[1,1,0] op_sel_hi:[1,1,0]
	;; [unrolled: 2-line block ×4, first 2 shown]
	s_waitcnt vmcnt(0)
	v_fma_mix_f32 v1, v10, v10, v1 op_sel_hi:[1,1,0]
	v_fma_mix_f32 v1, v10, v10, v1 op_sel:[1,1,0] op_sel_hi:[1,1,0]
	v_fma_mix_f32 v1, v11, v11, v1 op_sel_hi:[1,1,0]
	v_fma_mix_f32 v1, v11, v11, v1 op_sel:[1,1,0] op_sel_hi:[1,1,0]
	;; [unrolled: 2-line block ×4, first 2 shown]
	s_andn2_b64 exec, exec, s[0:1]
	s_cbranch_execnz .LBB5_17
; %bb.18:
	s_or_b64 exec, exec, s[0:1]
.LBB5_19:
	s_or_b64 exec, exec, s[8:9]
.LBB5_20:
	v_mbcnt_lo_u32_b32 v2, -1, 0
	v_mbcnt_hi_u32_b32 v2, -1, v2
	v_and_b32_e32 v3, 63, v2
	v_cmp_ne_u32_e32 vcc, 63, v3
	v_addc_co_u32_e32 v4, vcc, 0, v2, vcc
	v_lshlrev_b32_e32 v4, 2, v4
	ds_bpermute_b32 v4, v4, v1
	v_and_b32_e32 v5, 0x3c0, v0
	v_sub_u32_e64 v5, s15, v5 clamp
	v_add_u32_e32 v6, 1, v2
	v_cmp_lt_u32_e32 vcc, v6, v5
	s_waitcnt lgkmcnt(0)
	v_add_f32_e32 v4, v1, v4
	v_cndmask_b32_e32 v1, v1, v4, vcc
	v_cmp_gt_u32_e32 vcc, 62, v3
	v_cndmask_b32_e64 v4, 0, 1, vcc
	v_lshlrev_b32_e32 v4, 1, v4
	v_add_lshl_u32 v4, v4, v2, 2
	ds_bpermute_b32 v4, v4, v1
	v_add_u32_e32 v6, 2, v2
	v_cmp_lt_u32_e32 vcc, v6, v5
	v_add_u32_e32 v6, 4, v2
	s_waitcnt lgkmcnt(0)
	v_add_f32_e32 v4, v1, v4
	v_cndmask_b32_e32 v1, v1, v4, vcc
	v_cmp_gt_u32_e32 vcc, 60, v3
	v_cndmask_b32_e64 v4, 0, 1, vcc
	v_lshlrev_b32_e32 v4, 2, v4
	v_add_lshl_u32 v4, v4, v2, 2
	ds_bpermute_b32 v4, v4, v1
	v_cmp_lt_u32_e32 vcc, v6, v5
	v_add_u32_e32 v6, 8, v2
	s_waitcnt lgkmcnt(0)
	v_add_f32_e32 v4, v1, v4
	v_cndmask_b32_e32 v1, v1, v4, vcc
	v_cmp_gt_u32_e32 vcc, 56, v3
	v_cndmask_b32_e64 v4, 0, 1, vcc
	v_lshlrev_b32_e32 v4, 3, v4
	v_add_lshl_u32 v4, v4, v2, 2
	ds_bpermute_b32 v4, v4, v1
	v_cmp_lt_u32_e32 vcc, v6, v5
	v_add_u32_e32 v6, 16, v2
	s_waitcnt lgkmcnt(0)
	v_add_f32_e32 v4, v1, v4
	v_cndmask_b32_e32 v1, v1, v4, vcc
	v_cmp_gt_u32_e32 vcc, 48, v3
	v_cndmask_b32_e64 v4, 0, 1, vcc
	v_lshlrev_b32_e32 v4, 4, v4
	v_add_lshl_u32 v4, v4, v2, 2
	ds_bpermute_b32 v4, v4, v1
	v_cmp_lt_u32_e32 vcc, v6, v5
	s_waitcnt lgkmcnt(0)
	v_add_f32_e32 v4, v1, v4
	v_cndmask_b32_e32 v1, v1, v4, vcc
	v_cmp_gt_u32_e32 vcc, 32, v3
	v_cndmask_b32_e64 v3, 0, 1, vcc
	v_lshlrev_b32_e32 v3, 5, v3
	v_add_lshl_u32 v3, v3, v2, 2
	ds_bpermute_b32 v3, v3, v1
	v_add_u32_e32 v4, 32, v2
	v_cmp_lt_u32_e32 vcc, v4, v5
	s_waitcnt lgkmcnt(0)
	v_add_f32_e32 v3, v1, v3
	v_cndmask_b32_e32 v1, v1, v3, vcc
	v_cmp_eq_u32_e32 vcc, 0, v2
	s_and_saveexec_b64 s[0:1], vcc
	s_cbranch_execz .LBB5_22
; %bb.21:
	v_lshrrev_b32_e32 v3, 4, v0
	v_and_b32_e32 v3, 60, v3
	ds_write_b32 v3, v1
.LBB5_22:
	s_or_b64 exec, exec, s[0:1]
	v_cmp_gt_u32_e32 vcc, 16, v0
	s_waitcnt lgkmcnt(0)
	s_barrier
	s_and_saveexec_b64 s[2:3], vcc
	s_cbranch_execz .LBB5_24
; %bb.23:
	v_lshlrev_b32_e32 v1, 2, v2
	ds_read_b32 v1, v1
	v_and_b32_e32 v3, 15, v2
	v_cmp_ne_u32_e32 vcc, 15, v3
	v_addc_co_u32_e32 v4, vcc, 0, v2, vcc
	v_lshlrev_b32_e32 v4, 2, v4
	s_waitcnt lgkmcnt(0)
	ds_bpermute_b32 v4, v4, v1
	s_add_i32 s0, s15, 63
	s_lshr_b32 s8, s0, 6
	v_add_u32_e32 v5, 1, v3
	v_cmp_gt_u32_e64 s[0:1], 14, v3
	v_cmp_gt_u32_e32 vcc, s8, v5
	v_cndmask_b32_e64 v5, 0, 1, s[0:1]
	s_waitcnt lgkmcnt(0)
	v_add_f32_e32 v4, v1, v4
	v_lshlrev_b32_e32 v5, 1, v5
	v_cndmask_b32_e32 v4, v1, v4, vcc
	v_add_lshl_u32 v5, v5, v2, 2
	ds_bpermute_b32 v5, v5, v4
	v_add_u32_e32 v6, 2, v3
	v_cmp_gt_u32_e64 s[0:1], s8, v6
	v_add_u32_e32 v6, 4, v3
	s_waitcnt lgkmcnt(0)
	v_add_f32_e32 v5, v4, v5
	v_cndmask_b32_e64 v4, v4, v5, s[0:1]
	v_cmp_gt_u32_e64 s[0:1], 12, v3
	v_cndmask_b32_e64 v5, 0, 1, s[0:1]
	v_lshlrev_b32_e32 v5, 2, v5
	v_add_lshl_u32 v5, v5, v2, 2
	ds_bpermute_b32 v5, v5, v4
	v_cmp_gt_u32_e64 s[0:1], s8, v6
	s_waitcnt lgkmcnt(0)
	v_add_f32_e32 v5, v4, v5
	v_cndmask_b32_e64 v4, v4, v5, s[0:1]
	v_cmp_gt_u32_e64 s[0:1], 8, v3
	v_cndmask_b32_e64 v5, 0, 1, s[0:1]
	v_lshlrev_b32_e32 v5, 3, v5
	v_add_lshl_u32 v2, v5, v2, 2
	ds_bpermute_b32 v2, v2, v4
	v_add_u32_e32 v3, 8, v3
	v_cmp_gt_u32_e64 s[0:1], s8, v3
	s_waitcnt lgkmcnt(0)
	v_add_f32_e32 v2, v4, v2
	v_cndmask_b32_e64 v2, v4, v2, s[0:1]
	v_cndmask_b32_e32 v1, v1, v2, vcc
.LBB5_24:
	s_or_b64 exec, exec, s[2:3]
	v_cmp_eq_u32_e32 vcc, 0, v0
	s_and_saveexec_b64 s[0:1], vcc
	s_cbranch_execz .LBB5_26
; %bb.25:
	v_cvt_f32_i32_e32 v2, s16
	s_load_dword s8, s[4:5], 0x40
	v_div_scale_f32 v3, s[2:3], v2, v2, v1
	v_rcp_f32_e32 v4, v3
	v_div_scale_f32 v5, vcc, v1, v2, v1
	s_mov_b32 s2, 0x800000
	v_fma_f32 v6, -v3, v4, 1.0
	v_fmac_f32_e32 v4, v6, v4
	v_mul_f32_e32 v6, v5, v4
	v_fma_f32 v7, -v3, v6, v5
	v_fmac_f32_e32 v6, v7, v4
	v_fma_f32 v3, -v3, v6, v5
	v_div_fmas_f32 v3, v3, v4, v6
	v_div_fixup_f32 v1, v3, v2, v1
	s_waitcnt lgkmcnt(0)
	v_add_f32_e32 v1, s8, v1
	v_mul_f32_e32 v2, 0x4b800000, v1
	v_cmp_gt_f32_e32 vcc, s2, v1
	v_cndmask_b32_e32 v1, v1, v2, vcc
	v_rsq_f32_e32 v1, v1
	v_mul_f32_e32 v2, 0x45800000, v1
	v_cndmask_b32_e32 v1, v1, v2, vcc
	v_mov_b32_e32 v2, 0
	ds_write_b32 v2, v1 offset:64
.LBB5_26:
	s_or_b64 exec, exec, s[0:1]
	s_ashr_i32 s0, s16, 31
	s_lshr_b32 s0, s0, 28
	s_add_i32 s0, s16, s0
	s_ashr_i32 s8, s0, 4
	v_cmp_gt_i32_e32 vcc, s8, v0
	s_waitcnt lgkmcnt(0)
	s_barrier
	s_and_saveexec_b64 s[0:1], vcc
	s_cbranch_execz .LBB5_29
; %bb.27:
	v_mov_b32_e32 v1, 0
	s_load_dwordx2 s[0:1], s[4:5], 0x0
	s_load_dwordx2 s[2:3], s[4:5], 0x38
	ds_read_b32 v2, v1 offset:64
	s_mul_i32 s4, s6, s16
	s_mov_b32 s5, 0
	s_lshl_b64 s[4:5], s[4:5], 1
	s_waitcnt lgkmcnt(0)
	s_add_u32 s6, s0, s4
	s_addc_u32 s9, s1, s5
	v_mov_b32_e32 v3, v2
	v_lshlrev_b32_e32 v4, 5, v0
	s_lshl_b32 s10, s15, 5
	s_mov_b64 s[4:5], 0
	v_mov_b32_e32 v6, v2
	v_mov_b32_e32 v7, v2
.LBB5_28:                               ; =>This Inner Loop Header: Depth=1
	v_mov_b32_e32 v1, s14
	v_add_co_u32_e64 v16, s[0:1], s7, v4
	v_addc_co_u32_e64 v17, s[0:1], 0, v1, s[0:1]
	global_load_dwordx4 v[8:11], v[16:17], off
	global_load_dwordx4 v[12:15], v[16:17], off offset:16
	v_mov_b32_e32 v5, s3
	v_add_co_u32_e32 v24, vcc, s2, v4
	v_addc_co_u32_e32 v25, vcc, 0, v5, vcc
	global_load_dwordx4 v[16:19], v[24:25], off
	global_load_dwordx4 v[20:23], v[24:25], off offset:16
	v_mov_b32_e32 v1, s9
	v_add_co_u32_e32 v24, vcc, s6, v4
	s_add_u32 s6, s6, s10
	v_addc_co_u32_e32 v25, vcc, 0, v1, vcc
	s_addc_u32 s9, s9, 0
	s_add_u32 s7, s7, s10
	s_addc_u32 s14, s14, 0
	v_add_u32_e32 v0, s15, v0
	s_add_u32 s2, s2, s10
	v_cmp_le_i32_e32 vcc, s8, v0
	s_addc_u32 s3, s3, 0
	s_or_b64 s[4:5], vcc, s[4:5]
	s_waitcnt vmcnt(3)
	v_cvt_f32_f16_e32 v26, v8
	v_cvt_f32_f16_sdwa v27, v8 dst_sel:DWORD dst_unused:UNUSED_PAD src0_sel:WORD_1
	v_cvt_f32_f16_e32 v8, v9
	v_cvt_f32_f16_sdwa v9, v9 dst_sel:DWORD dst_unused:UNUSED_PAD src0_sel:WORD_1
	;; [unrolled: 2-line block ×4, first 2 shown]
	s_waitcnt vmcnt(2)
	v_cvt_f32_f16_e32 v30, v12
	v_cvt_f32_f16_sdwa v31, v12 dst_sel:DWORD dst_unused:UNUSED_PAD src0_sel:WORD_1
	v_cvt_f32_f16_e32 v12, v13
	v_cvt_f32_f16_sdwa v13, v13 dst_sel:DWORD dst_unused:UNUSED_PAD src0_sel:WORD_1
	;; [unrolled: 2-line block ×4, first 2 shown]
	v_pk_mul_f32 v[8:9], v[6:7], v[8:9]
	v_pk_mul_f32 v[26:27], v[2:3], v[26:27]
	v_pk_mul_f32 v[10:11], v[6:7], v[10:11]
	v_pk_mul_f32 v[28:29], v[2:3], v[28:29]
	v_pk_mul_f32 v[12:13], v[6:7], v[12:13]
	v_pk_mul_f32 v[30:31], v[2:3], v[30:31]
	v_pk_mul_f32 v[14:15], v[6:7], v[14:15]
	v_pk_mul_f32 v[32:33], v[2:3], v[32:33]
	v_cvt_f16_f32_e32 v1, v27
	v_cvt_f16_f32_e32 v5, v26
	v_cvt_f16_f32_e32 v9, v9
	v_cvt_f16_f32_e32 v8, v8
	v_cvt_f16_f32_e32 v26, v29
	v_cvt_f16_f32_e32 v27, v28
	v_cvt_f16_f32_e32 v11, v11
	v_cvt_f16_f32_e32 v10, v10
	v_cvt_f16_f32_e32 v28, v31
	v_cvt_f16_f32_e32 v29, v30
	v_cvt_f16_f32_e32 v13, v13
	v_cvt_f16_f32_e32 v12, v12
	v_cvt_f16_f32_e32 v30, v33
	v_cvt_f16_f32_e32 v31, v32
	v_cvt_f16_f32_e32 v15, v15
	v_cvt_f16_f32_e32 v14, v14
	v_pack_b32_f16 v8, v8, v9
	v_pack_b32_f16 v1, v5, v1
	;; [unrolled: 1-line block ×8, first 2 shown]
	s_waitcnt vmcnt(1)
	v_pk_mul_f16 v9, v17, v8
	v_pk_mul_f16 v8, v16, v1
	;; [unrolled: 1-line block ×4, first 2 shown]
	s_waitcnt vmcnt(0)
	v_pk_mul_f16 v13, v21, v12
	v_pk_mul_f16 v12, v20, v26
	;; [unrolled: 1-line block ×4, first 2 shown]
	global_store_dwordx4 v[24:25], v[8:11], off
	global_store_dwordx4 v[24:25], v[12:15], off offset:16
	s_andn2_b64 exec, exec, s[4:5]
	s_cbranch_execnz .LBB5_28
.LBB5_29:
	s_endpgm
	.section	.rodata,"a",@progbits
	.p2align	6, 0x0
	.amdhsa_kernel _ZN4vllm15rms_norm_kernelIN3c104HalfELi16ELi2EEEvPT_PKS3_lllllS6_fii
		.amdhsa_group_segment_fixed_size 68
		.amdhsa_private_segment_fixed_size 0
		.amdhsa_kernarg_size 336
		.amdhsa_user_sgpr_count 6
		.amdhsa_user_sgpr_private_segment_buffer 1
		.amdhsa_user_sgpr_dispatch_ptr 0
		.amdhsa_user_sgpr_queue_ptr 0
		.amdhsa_user_sgpr_kernarg_segment_ptr 1
		.amdhsa_user_sgpr_dispatch_id 0
		.amdhsa_user_sgpr_flat_scratch_init 0
		.amdhsa_user_sgpr_kernarg_preload_length 0
		.amdhsa_user_sgpr_kernarg_preload_offset 0
		.amdhsa_user_sgpr_private_segment_size 0
		.amdhsa_uses_dynamic_stack 0
		.amdhsa_system_sgpr_private_segment_wavefront_offset 0
		.amdhsa_system_sgpr_workgroup_id_x 1
		.amdhsa_system_sgpr_workgroup_id_y 0
		.amdhsa_system_sgpr_workgroup_id_z 0
		.amdhsa_system_sgpr_workgroup_info 0
		.amdhsa_system_vgpr_workitem_id 0
		.amdhsa_next_free_vgpr 34
		.amdhsa_next_free_sgpr 21
		.amdhsa_accum_offset 36
		.amdhsa_reserve_vcc 1
		.amdhsa_reserve_flat_scratch 0
		.amdhsa_float_round_mode_32 0
		.amdhsa_float_round_mode_16_64 0
		.amdhsa_float_denorm_mode_32 3
		.amdhsa_float_denorm_mode_16_64 3
		.amdhsa_dx10_clamp 1
		.amdhsa_ieee_mode 1
		.amdhsa_fp16_overflow 0
		.amdhsa_tg_split 0
		.amdhsa_exception_fp_ieee_invalid_op 0
		.amdhsa_exception_fp_denorm_src 0
		.amdhsa_exception_fp_ieee_div_zero 0
		.amdhsa_exception_fp_ieee_overflow 0
		.amdhsa_exception_fp_ieee_underflow 0
		.amdhsa_exception_fp_ieee_inexact 0
		.amdhsa_exception_int_div_zero 0
	.end_amdhsa_kernel
	.section	.text._ZN4vllm15rms_norm_kernelIN3c104HalfELi16ELi2EEEvPT_PKS3_lllllS6_fii,"axG",@progbits,_ZN4vllm15rms_norm_kernelIN3c104HalfELi16ELi2EEEvPT_PKS3_lllllS6_fii,comdat
.Lfunc_end5:
	.size	_ZN4vllm15rms_norm_kernelIN3c104HalfELi16ELi2EEEvPT_PKS3_lllllS6_fii, .Lfunc_end5-_ZN4vllm15rms_norm_kernelIN3c104HalfELi16ELi2EEEvPT_PKS3_lllllS6_fii
                                        ; -- End function
	.section	.AMDGPU.csdata,"",@progbits
; Kernel info:
; codeLenInByte = 2356
; NumSgprs: 25
; NumVgprs: 34
; NumAgprs: 0
; TotalNumVgprs: 34
; ScratchSize: 0
; MemoryBound: 0
; FloatMode: 240
; IeeeMode: 1
; LDSByteSize: 68 bytes/workgroup (compile time only)
; SGPRBlocks: 3
; VGPRBlocks: 4
; NumSGPRsForWavesPerEU: 25
; NumVGPRsForWavesPerEU: 34
; AccumOffset: 36
; Occupancy: 8
; WaveLimiterHint : 0
; COMPUTE_PGM_RSRC2:SCRATCH_EN: 0
; COMPUTE_PGM_RSRC2:USER_SGPR: 6
; COMPUTE_PGM_RSRC2:TRAP_HANDLER: 0
; COMPUTE_PGM_RSRC2:TGID_X_EN: 1
; COMPUTE_PGM_RSRC2:TGID_Y_EN: 0
; COMPUTE_PGM_RSRC2:TGID_Z_EN: 0
; COMPUTE_PGM_RSRC2:TIDIG_COMP_CNT: 0
; COMPUTE_PGM_RSRC3_GFX90A:ACCUM_OFFSET: 8
; COMPUTE_PGM_RSRC3_GFX90A:TG_SPLIT: 0
	.section	.text._ZN4vllm15rms_norm_kernelIN3c104HalfELi8ELi2EEEvPT_PKS3_lllllS6_fii,"axG",@progbits,_ZN4vllm15rms_norm_kernelIN3c104HalfELi8ELi2EEEvPT_PKS3_lllllS6_fii,comdat
	.protected	_ZN4vllm15rms_norm_kernelIN3c104HalfELi8ELi2EEEvPT_PKS3_lllllS6_fii ; -- Begin function _ZN4vllm15rms_norm_kernelIN3c104HalfELi8ELi2EEEvPT_PKS3_lllllS6_fii
	.globl	_ZN4vllm15rms_norm_kernelIN3c104HalfELi8ELi2EEEvPT_PKS3_lllllS6_fii
	.p2align	8
	.type	_ZN4vllm15rms_norm_kernelIN3c104HalfELi8ELi2EEEvPT_PKS3_lllllS6_fii,@function
_ZN4vllm15rms_norm_kernelIN3c104HalfELi8ELi2EEEvPT_PKS3_lllllS6_fii: ; @_ZN4vllm15rms_norm_kernelIN3c104HalfELi8ELi2EEEvPT_PKS3_lllllS6_fii
; %bb.0:
	s_load_dwordx4 s[8:11], s[4:5], 0x8
	s_load_dword s14, s[4:5], 0x48
	s_load_dword s7, s[4:5], 0x5c
	s_waitcnt lgkmcnt(0)
	s_mul_i32 s0, s6, s11
	s_mul_hi_u32 s1, s6, s10
	s_add_i32 s1, s1, s0
	s_mul_i32 s0, s6, s10
	s_lshl_b64 s[2:3], s[0:1], 1
	s_add_u32 s0, s8, s2
	s_and_b32 s7, s7, 0xffff
	s_and_b32 s10, s0, 15
	s_mov_b32 s11, 0
	s_cmp_lg_u64 s[10:11], 0
	s_cselect_b64 s[10:11], -1, 0
	s_and_b32 s1, s14, 7
	s_cmp_lg_u32 s1, 0
	s_cselect_b64 s[12:13], -1, 0
	s_or_b64 s[10:11], s[10:11], s[12:13]
	s_and_b64 vcc, exec, s[10:11]
	s_cbranch_vccz .LBB6_14
; %bb.1:
	s_sub_i32 s0, 0, s0
	s_bfe_u32 s0, s0, 0x30001
	s_min_i32 s0, s0, s14
	v_cmp_gt_i32_e32 vcc, s0, v0
	v_mov_b32_e32 v1, 0
	s_and_saveexec_b64 s[10:11], vcc
	s_cbranch_execz .LBB6_5
; %bb.2:
	s_add_u32 s1, s8, s2
	v_lshlrev_b32_e32 v1, 1, v0
	s_addc_u32 s12, s9, s3
	s_mov_b32 s15, 0
	v_mov_b32_e32 v3, s12
	v_add_co_u32_e32 v2, vcc, s1, v1
	v_addc_co_u32_e32 v3, vcc, 0, v3, vcc
	s_lshl_b32 s1, s7, 1
	s_mov_b64 s[12:13], 0
	v_mov_b32_e32 v1, 0
	v_mov_b32_e32 v4, s15
	;; [unrolled: 1-line block ×3, first 2 shown]
.LBB6_3:                                ; =>This Inner Loop Header: Depth=1
	global_load_ushort v6, v[2:3], off
	v_add_co_u32_e32 v2, vcc, s1, v2
	v_add_u32_e32 v5, s7, v5
	v_addc_co_u32_e32 v3, vcc, v3, v4, vcc
	v_cmp_le_i32_e32 vcc, s0, v5
	s_or_b64 s[12:13], vcc, s[12:13]
	s_waitcnt vmcnt(0)
	v_fma_mix_f32 v1, v6, v6, v1 op_sel_hi:[1,1,0]
	s_andn2_b64 exec, exec, s[12:13]
	s_cbranch_execnz .LBB6_3
; %bb.4:
	s_or_b64 exec, exec, s[12:13]
.LBB6_5:
	s_or_b64 exec, exec, s[10:11]
	s_sub_i32 s15, s14, s0
	s_ashr_i32 s10, s15, 31
	s_lshr_b32 s10, s10, 29
	s_add_i32 s10, s15, s10
	s_ashr_i32 s16, s10, 3
	s_ashr_i32 s1, s0, 31
	v_cmp_gt_i32_e32 vcc, s16, v0
	s_and_saveexec_b64 s[10:11], vcc
	s_cbranch_execz .LBB6_9
; %bb.6:
	s_lshl_b64 s[12:13], s[0:1], 1
	s_add_u32 s12, s8, s12
	s_addc_u32 s13, s9, s13
	s_add_u32 s12, s12, s2
	v_lshlrev_b32_e32 v2, 4, v0
	s_addc_u32 s13, s13, s3
	s_mov_b32 s18, 0
	v_mov_b32_e32 v3, s13
	v_add_co_u32_e32 v2, vcc, s12, v2
	v_addc_co_u32_e32 v3, vcc, 0, v3, vcc
	s_lshl_b32 s17, s7, 4
	s_mov_b64 s[12:13], 0
	v_mov_b32_e32 v4, s18
	v_mov_b32_e32 v5, v0
.LBB6_7:                                ; =>This Inner Loop Header: Depth=1
	global_load_dwordx4 v[6:9], v[2:3], off
	v_add_co_u32_e32 v2, vcc, s17, v2
	v_add_u32_e32 v5, s7, v5
	v_addc_co_u32_e32 v3, vcc, v3, v4, vcc
	v_cmp_le_i32_e32 vcc, s16, v5
	s_or_b64 s[12:13], vcc, s[12:13]
	s_waitcnt vmcnt(0)
	v_fma_mix_f32 v1, v6, v6, v1 op_sel_hi:[1,1,0]
	v_fma_mix_f32 v1, v6, v6, v1 op_sel:[1,1,0] op_sel_hi:[1,1,0]
	v_fma_mix_f32 v1, v7, v7, v1 op_sel_hi:[1,1,0]
	v_fma_mix_f32 v1, v7, v7, v1 op_sel:[1,1,0] op_sel_hi:[1,1,0]
	;; [unrolled: 2-line block ×4, first 2 shown]
	s_andn2_b64 exec, exec, s[12:13]
	s_cbranch_execnz .LBB6_7
; %bb.8:
	s_or_b64 exec, exec, s[12:13]
.LBB6_9:
	s_or_b64 exec, exec, s[10:11]
	v_lshl_add_u32 v2, s16, 3, v0
	v_cmp_gt_i32_e32 vcc, s15, v2
	s_and_saveexec_b64 s[10:11], vcc
	s_cbranch_execz .LBB6_13
; %bb.10:
	s_lshl_b64 s[0:1], s[0:1], 1
	s_add_u32 s0, s2, s0
	s_addc_u32 s1, s3, s1
	v_ashrrev_i32_e32 v3, 31, v2
	s_add_u32 s0, s8, s0
	v_lshlrev_b64 v[4:5], 1, v[2:3]
	s_addc_u32 s1, s9, s1
	v_mov_b32_e32 v3, s1
	v_add_co_u32_e32 v4, vcc, s0, v4
	s_mov_b32 s13, 0
	v_addc_co_u32_e32 v5, vcc, v3, v5, vcc
	s_lshl_b32 s12, s7, 1
	s_mov_b64 s[0:1], 0
	v_mov_b32_e32 v3, s13
.LBB6_11:                               ; =>This Inner Loop Header: Depth=1
	global_load_ushort v6, v[4:5], off
	v_add_co_u32_e32 v4, vcc, s12, v4
	v_add_u32_e32 v2, s7, v2
	v_addc_co_u32_e32 v5, vcc, v5, v3, vcc
	v_cmp_le_i32_e32 vcc, s15, v2
	s_or_b64 s[0:1], vcc, s[0:1]
	s_waitcnt vmcnt(0)
	v_fma_mix_f32 v1, v6, v6, v1 op_sel_hi:[1,1,0]
	s_andn2_b64 exec, exec, s[0:1]
	s_cbranch_execnz .LBB6_11
; %bb.12:
	s_or_b64 exec, exec, s[0:1]
.LBB6_13:
	s_or_b64 exec, exec, s[10:11]
	s_branch .LBB6_20
.LBB6_14:
                                        ; implicit-def: $vgpr1
	s_cbranch_execz .LBB6_20
; %bb.15:
	s_ashr_i32 s12, s14, 3
	v_cmp_gt_i32_e32 vcc, s12, v0
	v_mov_b32_e32 v1, 0
	s_and_saveexec_b64 s[0:1], vcc
	s_cbranch_execz .LBB6_19
; %bb.16:
	s_add_u32 s10, s8, s2
	v_lshlrev_b32_e32 v1, 4, v0
	s_addc_u32 s11, s9, s3
	s_mov_b32 s15, 0
	v_mov_b32_e32 v3, s11
	v_add_co_u32_e32 v2, vcc, s10, v1
	v_addc_co_u32_e32 v3, vcc, 0, v3, vcc
	s_lshl_b32 s13, s7, 4
	s_mov_b64 s[10:11], 0
	v_mov_b32_e32 v1, 0
	v_mov_b32_e32 v4, s15
	;; [unrolled: 1-line block ×3, first 2 shown]
.LBB6_17:                               ; =>This Inner Loop Header: Depth=1
	global_load_dwordx4 v[6:9], v[2:3], off
	v_add_co_u32_e32 v2, vcc, s13, v2
	v_add_u32_e32 v5, s7, v5
	v_addc_co_u32_e32 v3, vcc, v3, v4, vcc
	v_cmp_le_i32_e32 vcc, s12, v5
	s_or_b64 s[10:11], vcc, s[10:11]
	s_waitcnt vmcnt(0)
	v_fma_mix_f32 v1, v6, v6, v1 op_sel_hi:[1,1,0]
	v_fma_mix_f32 v1, v6, v6, v1 op_sel:[1,1,0] op_sel_hi:[1,1,0]
	v_fma_mix_f32 v1, v7, v7, v1 op_sel_hi:[1,1,0]
	v_fma_mix_f32 v1, v7, v7, v1 op_sel:[1,1,0] op_sel_hi:[1,1,0]
	;; [unrolled: 2-line block ×4, first 2 shown]
	s_andn2_b64 exec, exec, s[10:11]
	s_cbranch_execnz .LBB6_17
; %bb.18:
	s_or_b64 exec, exec, s[10:11]
.LBB6_19:
	s_or_b64 exec, exec, s[0:1]
.LBB6_20:
	v_mbcnt_lo_u32_b32 v2, -1, 0
	v_mbcnt_hi_u32_b32 v2, -1, v2
	v_and_b32_e32 v3, 63, v2
	v_cmp_ne_u32_e32 vcc, 63, v3
	v_addc_co_u32_e32 v4, vcc, 0, v2, vcc
	v_lshlrev_b32_e32 v4, 2, v4
	ds_bpermute_b32 v4, v4, v1
	v_and_b32_e32 v5, 0x3c0, v0
	v_sub_u32_e64 v5, s7, v5 clamp
	v_add_u32_e32 v6, 1, v2
	v_cmp_lt_u32_e32 vcc, v6, v5
	s_waitcnt lgkmcnt(0)
	v_add_f32_e32 v4, v1, v4
	v_cndmask_b32_e32 v1, v1, v4, vcc
	v_cmp_gt_u32_e32 vcc, 62, v3
	v_cndmask_b32_e64 v4, 0, 1, vcc
	v_lshlrev_b32_e32 v4, 1, v4
	v_add_lshl_u32 v4, v4, v2, 2
	ds_bpermute_b32 v4, v4, v1
	v_add_u32_e32 v6, 2, v2
	v_cmp_lt_u32_e32 vcc, v6, v5
	v_add_u32_e32 v6, 4, v2
	s_waitcnt lgkmcnt(0)
	v_add_f32_e32 v4, v1, v4
	v_cndmask_b32_e32 v1, v1, v4, vcc
	v_cmp_gt_u32_e32 vcc, 60, v3
	v_cndmask_b32_e64 v4, 0, 1, vcc
	v_lshlrev_b32_e32 v4, 2, v4
	v_add_lshl_u32 v4, v4, v2, 2
	ds_bpermute_b32 v4, v4, v1
	v_cmp_lt_u32_e32 vcc, v6, v5
	v_add_u32_e32 v6, 8, v2
	s_waitcnt lgkmcnt(0)
	v_add_f32_e32 v4, v1, v4
	v_cndmask_b32_e32 v1, v1, v4, vcc
	v_cmp_gt_u32_e32 vcc, 56, v3
	v_cndmask_b32_e64 v4, 0, 1, vcc
	v_lshlrev_b32_e32 v4, 3, v4
	v_add_lshl_u32 v4, v4, v2, 2
	ds_bpermute_b32 v4, v4, v1
	;; [unrolled: 10-line block ×3, first 2 shown]
	v_cmp_lt_u32_e32 vcc, v6, v5
	s_waitcnt lgkmcnt(0)
	v_add_f32_e32 v4, v1, v4
	v_cndmask_b32_e32 v1, v1, v4, vcc
	v_cmp_gt_u32_e32 vcc, 32, v3
	v_cndmask_b32_e64 v3, 0, 1, vcc
	v_lshlrev_b32_e32 v3, 5, v3
	v_add_lshl_u32 v3, v3, v2, 2
	ds_bpermute_b32 v3, v3, v1
	v_add_u32_e32 v4, 32, v2
	v_cmp_lt_u32_e32 vcc, v4, v5
	s_waitcnt lgkmcnt(0)
	v_add_f32_e32 v3, v1, v3
	v_cndmask_b32_e32 v1, v1, v3, vcc
	v_cmp_eq_u32_e32 vcc, 0, v2
	s_and_saveexec_b64 s[0:1], vcc
	s_cbranch_execz .LBB6_22
; %bb.21:
	v_lshrrev_b32_e32 v3, 4, v0
	v_and_b32_e32 v3, 60, v3
	ds_write_b32 v3, v1
.LBB6_22:
	s_or_b64 exec, exec, s[0:1]
	v_cmp_gt_u32_e32 vcc, 16, v0
	s_waitcnt lgkmcnt(0)
	s_barrier
	s_and_saveexec_b64 s[10:11], vcc
	s_cbranch_execz .LBB6_24
; %bb.23:
	v_lshlrev_b32_e32 v1, 2, v2
	ds_read_b32 v1, v1
	v_and_b32_e32 v3, 15, v2
	v_cmp_ne_u32_e32 vcc, 15, v3
	v_addc_co_u32_e32 v4, vcc, 0, v2, vcc
	v_lshlrev_b32_e32 v4, 2, v4
	s_waitcnt lgkmcnt(0)
	ds_bpermute_b32 v4, v4, v1
	s_add_i32 s0, s7, 63
	s_lshr_b32 s12, s0, 6
	v_add_u32_e32 v5, 1, v3
	v_cmp_gt_u32_e64 s[0:1], 14, v3
	v_cmp_gt_u32_e32 vcc, s12, v5
	v_cndmask_b32_e64 v5, 0, 1, s[0:1]
	s_waitcnt lgkmcnt(0)
	v_add_f32_e32 v4, v1, v4
	v_lshlrev_b32_e32 v5, 1, v5
	v_cndmask_b32_e32 v4, v1, v4, vcc
	v_add_lshl_u32 v5, v5, v2, 2
	ds_bpermute_b32 v5, v5, v4
	v_add_u32_e32 v6, 2, v3
	v_cmp_gt_u32_e64 s[0:1], s12, v6
	v_add_u32_e32 v6, 4, v3
	s_waitcnt lgkmcnt(0)
	v_add_f32_e32 v5, v4, v5
	v_cndmask_b32_e64 v4, v4, v5, s[0:1]
	v_cmp_gt_u32_e64 s[0:1], 12, v3
	v_cndmask_b32_e64 v5, 0, 1, s[0:1]
	v_lshlrev_b32_e32 v5, 2, v5
	v_add_lshl_u32 v5, v5, v2, 2
	ds_bpermute_b32 v5, v5, v4
	v_cmp_gt_u32_e64 s[0:1], s12, v6
	s_waitcnt lgkmcnt(0)
	v_add_f32_e32 v5, v4, v5
	v_cndmask_b32_e64 v4, v4, v5, s[0:1]
	v_cmp_gt_u32_e64 s[0:1], 8, v3
	v_cndmask_b32_e64 v5, 0, 1, s[0:1]
	v_lshlrev_b32_e32 v5, 3, v5
	v_add_lshl_u32 v2, v5, v2, 2
	ds_bpermute_b32 v2, v2, v4
	v_add_u32_e32 v3, 8, v3
	v_cmp_gt_u32_e64 s[0:1], s12, v3
	s_waitcnt lgkmcnt(0)
	v_add_f32_e32 v2, v4, v2
	v_cndmask_b32_e64 v2, v4, v2, s[0:1]
	v_cndmask_b32_e32 v1, v1, v2, vcc
.LBB6_24:
	s_or_b64 exec, exec, s[10:11]
	v_cmp_eq_u32_e32 vcc, 0, v0
	s_and_saveexec_b64 s[0:1], vcc
	s_cbranch_execz .LBB6_26
; %bb.25:
	v_cvt_f32_i32_e32 v2, s14
	s_load_dword s12, s[4:5], 0x40
	v_div_scale_f32 v3, s[10:11], v2, v2, v1
	v_rcp_f32_e32 v4, v3
	v_div_scale_f32 v5, vcc, v1, v2, v1
	s_mov_b32 s10, 0x800000
	v_fma_f32 v6, -v3, v4, 1.0
	v_fmac_f32_e32 v4, v6, v4
	v_mul_f32_e32 v6, v5, v4
	v_fma_f32 v7, -v3, v6, v5
	v_fmac_f32_e32 v6, v7, v4
	v_fma_f32 v3, -v3, v6, v5
	v_div_fmas_f32 v3, v3, v4, v6
	v_div_fixup_f32 v1, v3, v2, v1
	s_waitcnt lgkmcnt(0)
	v_add_f32_e32 v1, s12, v1
	v_mul_f32_e32 v2, 0x4b800000, v1
	v_cmp_gt_f32_e32 vcc, s10, v1
	v_cndmask_b32_e32 v1, v1, v2, vcc
	v_rsq_f32_e32 v1, v1
	v_mul_f32_e32 v2, 0x45800000, v1
	v_cndmask_b32_e32 v1, v1, v2, vcc
	v_mov_b32_e32 v2, 0
	ds_write_b32 v2, v1 offset:64
.LBB6_26:
	s_or_b64 exec, exec, s[0:1]
	s_ashr_i32 s0, s14, 31
	s_lshr_b32 s0, s0, 29
	s_add_i32 s0, s14, s0
	s_ashr_i32 s10, s0, 3
	v_cmp_gt_i32_e32 vcc, s10, v0
	s_waitcnt lgkmcnt(0)
	s_barrier
	s_and_saveexec_b64 s[0:1], vcc
	s_cbranch_execz .LBB6_29
; %bb.27:
	s_load_dwordx2 s[0:1], s[4:5], 0x0
	s_load_dwordx2 s[12:13], s[4:5], 0x38
	s_mul_i32 s14, s6, s14
	s_mov_b32 s15, 0
	s_lshl_b64 s[4:5], s[14:15], 1
	s_waitcnt lgkmcnt(0)
	s_add_u32 s4, s0, s4
	s_addc_u32 s6, s1, s5
	s_lshl_b32 s5, s7, 4
	v_mov_b32_e32 v1, 0
	s_add_u32 s0, s8, s2
	ds_read_b32 v2, v1 offset:64
	s_addc_u32 s1, s3, s9
	s_add_u32 s2, s0, 8
	s_addc_u32 s8, s1, 0
	s_add_u32 s3, s12, 8
	s_addc_u32 s9, s13, 0
	s_waitcnt lgkmcnt(0)
	v_mov_b32_e32 v3, v2
	v_lshlrev_b32_e32 v4, 4, v0
	s_mov_b64 s[0:1], 0
	v_mov_b32_e32 v5, s8
	v_mov_b32_e32 v8, s9
	;; [unrolled: 1-line block ×6, first 2 shown]
.LBB6_28:                               ; =>This Inner Loop Header: Depth=1
	v_add_co_u32_e32 v12, vcc, s2, v4
	v_addc_co_u32_e32 v13, vcc, v5, v1, vcc
	global_load_dwordx4 v[12:15], v[12:13], off offset:-8
	v_add_co_u32_e32 v16, vcc, s3, v4
	v_addc_co_u32_e32 v17, vcc, v8, v1, vcc
	global_load_dwordx4 v[16:19], v[16:17], off offset:-8
	v_add_co_u32_e32 v20, vcc, s4, v4
	v_addc_co_u32_e32 v21, vcc, v9, v1, vcc
	v_add_co_u32_e32 v4, vcc, s5, v4
	v_add_u32_e32 v0, s7, v0
	v_addc_co_u32_e32 v1, vcc, v1, v10, vcc
	v_cmp_le_i32_e32 vcc, s10, v0
	s_or_b64 s[0:1], vcc, s[0:1]
	s_waitcnt vmcnt(1)
	v_cvt_f32_f16_e32 v22, v12
	v_cvt_f32_f16_sdwa v23, v12 dst_sel:DWORD dst_unused:UNUSED_PAD src0_sel:WORD_1
	v_cvt_f32_f16_e32 v12, v13
	v_cvt_f32_f16_sdwa v13, v13 dst_sel:DWORD dst_unused:UNUSED_PAD src0_sel:WORD_1
	v_cvt_f32_f16_e32 v24, v14
	v_cvt_f32_f16_e32 v26, v15
	v_cvt_f32_f16_sdwa v27, v15 dst_sel:DWORD dst_unused:UNUSED_PAD src0_sel:WORD_1
	v_cvt_f32_f16_sdwa v25, v14 dst_sel:DWORD dst_unused:UNUSED_PAD src0_sel:WORD_1
	v_pk_mul_f32 v[12:13], v[6:7], v[12:13]
	v_pk_mul_f32 v[14:15], v[2:3], v[22:23]
	;; [unrolled: 1-line block ×4, first 2 shown]
	v_cvt_f16_f32_e32 v11, v15
	v_cvt_f16_f32_e32 v14, v14
	;; [unrolled: 1-line block ×8, first 2 shown]
	v_pack_b32_f16 v12, v12, v13
	v_pack_b32_f16 v11, v14, v11
	;; [unrolled: 1-line block ×4, first 2 shown]
	s_waitcnt vmcnt(0)
	v_pk_mul_f16 v13, v17, v12
	v_pk_mul_f16 v12, v16, v11
	;; [unrolled: 1-line block ×4, first 2 shown]
	global_store_dwordx4 v[20:21], v[12:15], off
	s_andn2_b64 exec, exec, s[0:1]
	s_cbranch_execnz .LBB6_28
.LBB6_29:
	s_endpgm
	.section	.rodata,"a",@progbits
	.p2align	6, 0x0
	.amdhsa_kernel _ZN4vllm15rms_norm_kernelIN3c104HalfELi8ELi2EEEvPT_PKS3_lllllS6_fii
		.amdhsa_group_segment_fixed_size 68
		.amdhsa_private_segment_fixed_size 0
		.amdhsa_kernarg_size 336
		.amdhsa_user_sgpr_count 6
		.amdhsa_user_sgpr_private_segment_buffer 1
		.amdhsa_user_sgpr_dispatch_ptr 0
		.amdhsa_user_sgpr_queue_ptr 0
		.amdhsa_user_sgpr_kernarg_segment_ptr 1
		.amdhsa_user_sgpr_dispatch_id 0
		.amdhsa_user_sgpr_flat_scratch_init 0
		.amdhsa_user_sgpr_kernarg_preload_length 0
		.amdhsa_user_sgpr_kernarg_preload_offset 0
		.amdhsa_user_sgpr_private_segment_size 0
		.amdhsa_uses_dynamic_stack 0
		.amdhsa_system_sgpr_private_segment_wavefront_offset 0
		.amdhsa_system_sgpr_workgroup_id_x 1
		.amdhsa_system_sgpr_workgroup_id_y 0
		.amdhsa_system_sgpr_workgroup_id_z 0
		.amdhsa_system_sgpr_workgroup_info 0
		.amdhsa_system_vgpr_workitem_id 0
		.amdhsa_next_free_vgpr 28
		.amdhsa_next_free_sgpr 19
		.amdhsa_accum_offset 28
		.amdhsa_reserve_vcc 1
		.amdhsa_reserve_flat_scratch 0
		.amdhsa_float_round_mode_32 0
		.amdhsa_float_round_mode_16_64 0
		.amdhsa_float_denorm_mode_32 3
		.amdhsa_float_denorm_mode_16_64 3
		.amdhsa_dx10_clamp 1
		.amdhsa_ieee_mode 1
		.amdhsa_fp16_overflow 0
		.amdhsa_tg_split 0
		.amdhsa_exception_fp_ieee_invalid_op 0
		.amdhsa_exception_fp_denorm_src 0
		.amdhsa_exception_fp_ieee_div_zero 0
		.amdhsa_exception_fp_ieee_overflow 0
		.amdhsa_exception_fp_ieee_underflow 0
		.amdhsa_exception_fp_ieee_inexact 0
		.amdhsa_exception_int_div_zero 0
	.end_amdhsa_kernel
	.section	.text._ZN4vllm15rms_norm_kernelIN3c104HalfELi8ELi2EEEvPT_PKS3_lllllS6_fii,"axG",@progbits,_ZN4vllm15rms_norm_kernelIN3c104HalfELi8ELi2EEEvPT_PKS3_lllllS6_fii,comdat
.Lfunc_end6:
	.size	_ZN4vllm15rms_norm_kernelIN3c104HalfELi8ELi2EEEvPT_PKS3_lllllS6_fii, .Lfunc_end6-_ZN4vllm15rms_norm_kernelIN3c104HalfELi8ELi2EEEvPT_PKS3_lllllS6_fii
                                        ; -- End function
	.section	.AMDGPU.csdata,"",@progbits
; Kernel info:
; codeLenInByte = 2000
; NumSgprs: 23
; NumVgprs: 28
; NumAgprs: 0
; TotalNumVgprs: 28
; ScratchSize: 0
; MemoryBound: 0
; FloatMode: 240
; IeeeMode: 1
; LDSByteSize: 68 bytes/workgroup (compile time only)
; SGPRBlocks: 2
; VGPRBlocks: 3
; NumSGPRsForWavesPerEU: 23
; NumVGPRsForWavesPerEU: 28
; AccumOffset: 28
; Occupancy: 8
; WaveLimiterHint : 0
; COMPUTE_PGM_RSRC2:SCRATCH_EN: 0
; COMPUTE_PGM_RSRC2:USER_SGPR: 6
; COMPUTE_PGM_RSRC2:TRAP_HANDLER: 0
; COMPUTE_PGM_RSRC2:TGID_X_EN: 1
; COMPUTE_PGM_RSRC2:TGID_Y_EN: 0
; COMPUTE_PGM_RSRC2:TGID_Z_EN: 0
; COMPUTE_PGM_RSRC2:TIDIG_COMP_CNT: 0
; COMPUTE_PGM_RSRC3_GFX90A:ACCUM_OFFSET: 6
; COMPUTE_PGM_RSRC3_GFX90A:TG_SPLIT: 0
	.section	.text._ZN4vllm15rms_norm_kernelIN3c104HalfELi4ELi2EEEvPT_PKS3_lllllS6_fii,"axG",@progbits,_ZN4vllm15rms_norm_kernelIN3c104HalfELi4ELi2EEEvPT_PKS3_lllllS6_fii,comdat
	.protected	_ZN4vllm15rms_norm_kernelIN3c104HalfELi4ELi2EEEvPT_PKS3_lllllS6_fii ; -- Begin function _ZN4vllm15rms_norm_kernelIN3c104HalfELi4ELi2EEEvPT_PKS3_lllllS6_fii
	.globl	_ZN4vllm15rms_norm_kernelIN3c104HalfELi4ELi2EEEvPT_PKS3_lllllS6_fii
	.p2align	8
	.type	_ZN4vllm15rms_norm_kernelIN3c104HalfELi4ELi2EEEvPT_PKS3_lllllS6_fii,@function
_ZN4vllm15rms_norm_kernelIN3c104HalfELi4ELi2EEEvPT_PKS3_lllllS6_fii: ; @_ZN4vllm15rms_norm_kernelIN3c104HalfELi4ELi2EEEvPT_PKS3_lllllS6_fii
; %bb.0:
	s_load_dwordx4 s[0:3], s[4:5], 0x8
	s_load_dword s16, s[4:5], 0x48
	s_load_dword s8, s[4:5], 0x5c
	s_mov_b32 s9, 0
	s_waitcnt lgkmcnt(0)
	s_mul_i32 s3, s6, s3
	s_mul_hi_u32 s7, s6, s2
	s_add_i32 s3, s7, s3
	s_mul_i32 s2, s6, s2
	s_lshl_b64 s[2:3], s[2:3], 1
	s_add_u32 s7, s0, s2
	s_addc_u32 s15, s1, s3
	s_and_b32 s14, s8, 0xffff
	s_and_b32 s8, s7, 7
	s_cmp_lg_u64 s[8:9], 0
	s_cselect_b64 s[8:9], -1, 0
	s_and_b32 s10, s16, 3
	s_cmp_lg_u32 s10, 0
	s_cselect_b64 s[10:11], -1, 0
	s_or_b64 s[8:9], s[8:9], s[10:11]
	s_and_b64 vcc, exec, s[8:9]
	s_cbranch_vccz .LBB7_14
; %bb.1:
	s_sub_i32 s8, 0, s7
	s_bfe_u32 s8, s8, 0x20001
	s_min_i32 s8, s8, s16
	v_cmp_gt_i32_e32 vcc, s8, v0
	v_mov_b32_e32 v1, 0
	s_and_saveexec_b64 s[10:11], vcc
	s_cbranch_execz .LBB7_5
; %bb.2:
	s_add_u32 s9, s0, s2
	v_lshlrev_b32_e32 v1, 1, v0
	s_addc_u32 s12, s1, s3
	s_mov_b32 s17, 0
	v_mov_b32_e32 v3, s12
	v_add_co_u32_e32 v2, vcc, s9, v1
	v_addc_co_u32_e32 v3, vcc, 0, v3, vcc
	s_lshl_b32 s9, s14, 1
	s_mov_b64 s[12:13], 0
	v_mov_b32_e32 v1, 0
	v_mov_b32_e32 v4, s17
	;; [unrolled: 1-line block ×3, first 2 shown]
.LBB7_3:                                ; =>This Inner Loop Header: Depth=1
	global_load_ushort v6, v[2:3], off
	v_add_co_u32_e32 v2, vcc, s9, v2
	v_add_u32_e32 v5, s14, v5
	v_addc_co_u32_e32 v3, vcc, v3, v4, vcc
	v_cmp_le_i32_e32 vcc, s8, v5
	s_or_b64 s[12:13], vcc, s[12:13]
	s_waitcnt vmcnt(0)
	v_fma_mix_f32 v1, v6, v6, v1 op_sel_hi:[1,1,0]
	s_andn2_b64 exec, exec, s[12:13]
	s_cbranch_execnz .LBB7_3
; %bb.4:
	s_or_b64 exec, exec, s[12:13]
.LBB7_5:
	s_or_b64 exec, exec, s[10:11]
	s_sub_i32 s17, s16, s8
	s_ashr_i32 s10, s17, 31
	s_lshr_b32 s10, s10, 30
	s_add_i32 s10, s17, s10
	s_ashr_i32 s18, s10, 2
	s_ashr_i32 s9, s8, 31
	v_cmp_gt_i32_e32 vcc, s18, v0
	s_and_saveexec_b64 s[10:11], vcc
	s_cbranch_execz .LBB7_9
; %bb.6:
	s_lshl_b64 s[12:13], s[8:9], 1
	s_add_u32 s12, s0, s12
	s_addc_u32 s13, s1, s13
	s_add_u32 s12, s12, s2
	v_lshlrev_b32_e32 v2, 3, v0
	s_addc_u32 s13, s13, s3
	v_mov_b32_e32 v3, s13
	v_add_co_u32_e32 v2, vcc, s12, v2
	v_addc_co_u32_e32 v3, vcc, 0, v3, vcc
	s_mov_b32 s20, 0
	v_add_co_u32_e32 v2, vcc, 4, v2
	v_addc_co_u32_e32 v3, vcc, 0, v3, vcc
	s_lshl_b32 s19, s14, 3
	s_mov_b64 s[12:13], 0
	v_mov_b32_e32 v4, s20
	v_mov_b32_e32 v5, v0
.LBB7_7:                                ; =>This Inner Loop Header: Depth=1
	global_load_dwordx2 v[6:7], v[2:3], off offset:-4
	v_add_co_u32_e32 v2, vcc, s19, v2
	v_add_u32_e32 v5, s14, v5
	v_addc_co_u32_e32 v3, vcc, v3, v4, vcc
	v_cmp_le_i32_e32 vcc, s18, v5
	s_or_b64 s[12:13], vcc, s[12:13]
	s_waitcnt vmcnt(0)
	v_fma_mix_f32 v1, v6, v6, v1 op_sel_hi:[1,1,0]
	v_fma_mix_f32 v1, v6, v6, v1 op_sel:[1,1,0] op_sel_hi:[1,1,0]
	v_fma_mix_f32 v1, v7, v7, v1 op_sel_hi:[1,1,0]
	v_fma_mix_f32 v1, v7, v7, v1 op_sel:[1,1,0] op_sel_hi:[1,1,0]
	s_andn2_b64 exec, exec, s[12:13]
	s_cbranch_execnz .LBB7_7
; %bb.8:
	s_or_b64 exec, exec, s[12:13]
.LBB7_9:
	s_or_b64 exec, exec, s[10:11]
	v_lshl_add_u32 v2, s18, 2, v0
	v_cmp_gt_i32_e32 vcc, s17, v2
	s_and_saveexec_b64 s[10:11], vcc
	s_cbranch_execz .LBB7_13
; %bb.10:
	s_lshl_b64 s[8:9], s[8:9], 1
	s_add_u32 s8, s2, s8
	s_addc_u32 s9, s3, s9
	v_ashrrev_i32_e32 v3, 31, v2
	s_add_u32 s8, s0, s8
	v_lshlrev_b64 v[4:5], 1, v[2:3]
	s_addc_u32 s9, s1, s9
	v_mov_b32_e32 v3, s9
	v_add_co_u32_e32 v4, vcc, s8, v4
	s_mov_b32 s13, 0
	v_addc_co_u32_e32 v5, vcc, v3, v5, vcc
	s_lshl_b32 s12, s14, 1
	s_mov_b64 s[8:9], 0
	v_mov_b32_e32 v3, s13
.LBB7_11:                               ; =>This Inner Loop Header: Depth=1
	global_load_ushort v6, v[4:5], off
	v_add_co_u32_e32 v4, vcc, s12, v4
	v_add_u32_e32 v2, s14, v2
	v_addc_co_u32_e32 v5, vcc, v5, v3, vcc
	v_cmp_le_i32_e32 vcc, s17, v2
	s_or_b64 s[8:9], vcc, s[8:9]
	s_waitcnt vmcnt(0)
	v_fma_mix_f32 v1, v6, v6, v1 op_sel_hi:[1,1,0]
	s_andn2_b64 exec, exec, s[8:9]
	s_cbranch_execnz .LBB7_11
; %bb.12:
	s_or_b64 exec, exec, s[8:9]
.LBB7_13:
	s_or_b64 exec, exec, s[10:11]
	s_branch .LBB7_20
.LBB7_14:
                                        ; implicit-def: $vgpr1
	s_cbranch_execz .LBB7_20
; %bb.15:
	s_ashr_i32 s10, s16, 2
	v_cmp_gt_i32_e32 vcc, s10, v0
	v_mov_b32_e32 v1, 0
	s_and_saveexec_b64 s[8:9], vcc
	s_cbranch_execz .LBB7_19
; %bb.16:
	s_add_u32 s0, s0, s2
	v_lshlrev_b32_e32 v1, 3, v0
	s_addc_u32 s1, s1, s3
	v_mov_b32_e32 v2, s1
	v_add_co_u32_e32 v1, vcc, s0, v1
	v_addc_co_u32_e32 v3, vcc, 0, v2, vcc
	s_mov_b32 s11, 0
	v_add_co_u32_e32 v2, vcc, 4, v1
	v_addc_co_u32_e32 v3, vcc, 0, v3, vcc
	s_lshl_b32 s2, s14, 3
	s_mov_b64 s[0:1], 0
	v_mov_b32_e32 v1, 0
	v_mov_b32_e32 v4, s11
	;; [unrolled: 1-line block ×3, first 2 shown]
.LBB7_17:                               ; =>This Inner Loop Header: Depth=1
	global_load_dwordx2 v[6:7], v[2:3], off offset:-4
	v_add_co_u32_e32 v2, vcc, s2, v2
	v_add_u32_e32 v5, s14, v5
	v_addc_co_u32_e32 v3, vcc, v3, v4, vcc
	v_cmp_le_i32_e32 vcc, s10, v5
	s_or_b64 s[0:1], vcc, s[0:1]
	s_waitcnt vmcnt(0)
	v_fma_mix_f32 v1, v6, v6, v1 op_sel_hi:[1,1,0]
	v_fma_mix_f32 v1, v6, v6, v1 op_sel:[1,1,0] op_sel_hi:[1,1,0]
	v_fma_mix_f32 v1, v7, v7, v1 op_sel_hi:[1,1,0]
	v_fma_mix_f32 v1, v7, v7, v1 op_sel:[1,1,0] op_sel_hi:[1,1,0]
	s_andn2_b64 exec, exec, s[0:1]
	s_cbranch_execnz .LBB7_17
; %bb.18:
	s_or_b64 exec, exec, s[0:1]
.LBB7_19:
	s_or_b64 exec, exec, s[8:9]
.LBB7_20:
	v_mbcnt_lo_u32_b32 v2, -1, 0
	v_mbcnt_hi_u32_b32 v2, -1, v2
	v_and_b32_e32 v3, 63, v2
	v_cmp_ne_u32_e32 vcc, 63, v3
	v_addc_co_u32_e32 v4, vcc, 0, v2, vcc
	v_lshlrev_b32_e32 v4, 2, v4
	ds_bpermute_b32 v4, v4, v1
	v_and_b32_e32 v5, 0x3c0, v0
	v_sub_u32_e64 v5, s14, v5 clamp
	v_add_u32_e32 v6, 1, v2
	v_cmp_lt_u32_e32 vcc, v6, v5
	s_waitcnt lgkmcnt(0)
	v_add_f32_e32 v4, v1, v4
	v_cndmask_b32_e32 v1, v1, v4, vcc
	v_cmp_gt_u32_e32 vcc, 62, v3
	v_cndmask_b32_e64 v4, 0, 1, vcc
	v_lshlrev_b32_e32 v4, 1, v4
	v_add_lshl_u32 v4, v4, v2, 2
	ds_bpermute_b32 v4, v4, v1
	v_add_u32_e32 v6, 2, v2
	v_cmp_lt_u32_e32 vcc, v6, v5
	v_add_u32_e32 v6, 4, v2
	s_waitcnt lgkmcnt(0)
	v_add_f32_e32 v4, v1, v4
	v_cndmask_b32_e32 v1, v1, v4, vcc
	v_cmp_gt_u32_e32 vcc, 60, v3
	v_cndmask_b32_e64 v4, 0, 1, vcc
	v_lshlrev_b32_e32 v4, 2, v4
	v_add_lshl_u32 v4, v4, v2, 2
	ds_bpermute_b32 v4, v4, v1
	v_cmp_lt_u32_e32 vcc, v6, v5
	v_add_u32_e32 v6, 8, v2
	s_waitcnt lgkmcnt(0)
	v_add_f32_e32 v4, v1, v4
	v_cndmask_b32_e32 v1, v1, v4, vcc
	v_cmp_gt_u32_e32 vcc, 56, v3
	v_cndmask_b32_e64 v4, 0, 1, vcc
	v_lshlrev_b32_e32 v4, 3, v4
	v_add_lshl_u32 v4, v4, v2, 2
	ds_bpermute_b32 v4, v4, v1
	;; [unrolled: 10-line block ×3, first 2 shown]
	v_cmp_lt_u32_e32 vcc, v6, v5
	s_waitcnt lgkmcnt(0)
	v_add_f32_e32 v4, v1, v4
	v_cndmask_b32_e32 v1, v1, v4, vcc
	v_cmp_gt_u32_e32 vcc, 32, v3
	v_cndmask_b32_e64 v3, 0, 1, vcc
	v_lshlrev_b32_e32 v3, 5, v3
	v_add_lshl_u32 v3, v3, v2, 2
	ds_bpermute_b32 v3, v3, v1
	v_add_u32_e32 v4, 32, v2
	v_cmp_lt_u32_e32 vcc, v4, v5
	s_waitcnt lgkmcnt(0)
	v_add_f32_e32 v3, v1, v3
	v_cndmask_b32_e32 v1, v1, v3, vcc
	v_cmp_eq_u32_e32 vcc, 0, v2
	s_and_saveexec_b64 s[0:1], vcc
	s_cbranch_execz .LBB7_22
; %bb.21:
	v_lshrrev_b32_e32 v3, 4, v0
	v_and_b32_e32 v3, 60, v3
	ds_write_b32 v3, v1
.LBB7_22:
	s_or_b64 exec, exec, s[0:1]
	v_cmp_gt_u32_e32 vcc, 16, v0
	s_waitcnt lgkmcnt(0)
	s_barrier
	s_and_saveexec_b64 s[2:3], vcc
	s_cbranch_execz .LBB7_24
; %bb.23:
	v_lshlrev_b32_e32 v1, 2, v2
	ds_read_b32 v1, v1
	v_and_b32_e32 v3, 15, v2
	v_cmp_ne_u32_e32 vcc, 15, v3
	v_addc_co_u32_e32 v4, vcc, 0, v2, vcc
	v_lshlrev_b32_e32 v4, 2, v4
	s_waitcnt lgkmcnt(0)
	ds_bpermute_b32 v4, v4, v1
	s_add_i32 s0, s14, 63
	s_lshr_b32 s8, s0, 6
	v_add_u32_e32 v5, 1, v3
	v_cmp_gt_u32_e64 s[0:1], 14, v3
	v_cmp_gt_u32_e32 vcc, s8, v5
	v_cndmask_b32_e64 v5, 0, 1, s[0:1]
	s_waitcnt lgkmcnt(0)
	v_add_f32_e32 v4, v1, v4
	v_lshlrev_b32_e32 v5, 1, v5
	v_cndmask_b32_e32 v4, v1, v4, vcc
	v_add_lshl_u32 v5, v5, v2, 2
	ds_bpermute_b32 v5, v5, v4
	v_add_u32_e32 v6, 2, v3
	v_cmp_gt_u32_e64 s[0:1], s8, v6
	v_add_u32_e32 v6, 4, v3
	s_waitcnt lgkmcnt(0)
	v_add_f32_e32 v5, v4, v5
	v_cndmask_b32_e64 v4, v4, v5, s[0:1]
	v_cmp_gt_u32_e64 s[0:1], 12, v3
	v_cndmask_b32_e64 v5, 0, 1, s[0:1]
	v_lshlrev_b32_e32 v5, 2, v5
	v_add_lshl_u32 v5, v5, v2, 2
	ds_bpermute_b32 v5, v5, v4
	v_cmp_gt_u32_e64 s[0:1], s8, v6
	s_waitcnt lgkmcnt(0)
	v_add_f32_e32 v5, v4, v5
	v_cndmask_b32_e64 v4, v4, v5, s[0:1]
	v_cmp_gt_u32_e64 s[0:1], 8, v3
	v_cndmask_b32_e64 v5, 0, 1, s[0:1]
	v_lshlrev_b32_e32 v5, 3, v5
	v_add_lshl_u32 v2, v5, v2, 2
	ds_bpermute_b32 v2, v2, v4
	v_add_u32_e32 v3, 8, v3
	v_cmp_gt_u32_e64 s[0:1], s8, v3
	s_waitcnt lgkmcnt(0)
	v_add_f32_e32 v2, v4, v2
	v_cndmask_b32_e64 v2, v4, v2, s[0:1]
	v_cndmask_b32_e32 v1, v1, v2, vcc
.LBB7_24:
	s_or_b64 exec, exec, s[2:3]
	v_cmp_eq_u32_e32 vcc, 0, v0
	s_and_saveexec_b64 s[0:1], vcc
	s_cbranch_execz .LBB7_26
; %bb.25:
	v_cvt_f32_i32_e32 v2, s16
	s_load_dword s8, s[4:5], 0x40
	v_div_scale_f32 v3, s[2:3], v2, v2, v1
	v_rcp_f32_e32 v4, v3
	v_div_scale_f32 v5, vcc, v1, v2, v1
	s_mov_b32 s2, 0x800000
	v_fma_f32 v6, -v3, v4, 1.0
	v_fmac_f32_e32 v4, v6, v4
	v_mul_f32_e32 v6, v5, v4
	v_fma_f32 v7, -v3, v6, v5
	v_fmac_f32_e32 v6, v7, v4
	v_fma_f32 v3, -v3, v6, v5
	v_div_fmas_f32 v3, v3, v4, v6
	v_div_fixup_f32 v1, v3, v2, v1
	s_waitcnt lgkmcnt(0)
	v_add_f32_e32 v1, s8, v1
	v_mul_f32_e32 v2, 0x4b800000, v1
	v_cmp_gt_f32_e32 vcc, s2, v1
	v_cndmask_b32_e32 v1, v1, v2, vcc
	v_rsq_f32_e32 v1, v1
	v_mul_f32_e32 v2, 0x45800000, v1
	v_cndmask_b32_e32 v1, v1, v2, vcc
	v_mov_b32_e32 v2, 0
	ds_write_b32 v2, v1 offset:64
.LBB7_26:
	s_or_b64 exec, exec, s[0:1]
	s_ashr_i32 s0, s16, 31
	s_lshr_b32 s0, s0, 30
	s_add_i32 s0, s16, s0
	s_ashr_i32 s8, s0, 2
	v_cmp_gt_i32_e32 vcc, s8, v0
	s_waitcnt lgkmcnt(0)
	s_barrier
	s_and_saveexec_b64 s[0:1], vcc
	s_cbranch_execz .LBB7_29
; %bb.27:
	s_load_dwordx2 s[2:3], s[4:5], 0x0
	s_load_dwordx2 s[0:1], s[4:5], 0x38
	v_mov_b32_e32 v1, 0
	ds_read_b32 v2, v1 offset:64
	s_mul_i32 s10, s6, s16
	s_mov_b32 s11, 0
	s_lshl_b64 s[4:5], s[10:11], 1
	s_waitcnt lgkmcnt(0)
	s_add_u32 s4, s2, s4
	s_addc_u32 s6, s3, s5
	v_mov_b32_e32 v3, v2
	v_lshlrev_b32_e32 v4, 3, v0
	s_lshl_b32 s5, s14, 3
	s_mov_b64 s[2:3], 0
	v_mov_b32_e32 v5, s15
	v_mov_b32_e32 v8, s1
	;; [unrolled: 1-line block ×6, first 2 shown]
.LBB7_28:                               ; =>This Inner Loop Header: Depth=1
	v_add_co_u32_e32 v12, vcc, s7, v4
	v_addc_co_u32_e32 v13, vcc, v5, v1, vcc
	global_load_dwordx2 v[12:13], v[12:13], off
	v_add_co_u32_e32 v14, vcc, s0, v4
	v_addc_co_u32_e32 v15, vcc, v8, v1, vcc
	global_load_dwordx2 v[14:15], v[14:15], off
	v_add_co_u32_e32 v16, vcc, s4, v4
	v_addc_co_u32_e32 v17, vcc, v9, v1, vcc
	v_add_co_u32_e32 v4, vcc, s5, v4
	v_add_u32_e32 v0, s14, v0
	v_addc_co_u32_e32 v1, vcc, v1, v10, vcc
	v_cmp_le_i32_e32 vcc, s8, v0
	s_or_b64 s[2:3], vcc, s[2:3]
	s_waitcnt vmcnt(1)
	v_cvt_f32_f16_e32 v18, v12
	v_cvt_f32_f16_e32 v20, v13
	v_cvt_f32_f16_sdwa v21, v13 dst_sel:DWORD dst_unused:UNUSED_PAD src0_sel:WORD_1
	v_cvt_f32_f16_sdwa v19, v12 dst_sel:DWORD dst_unused:UNUSED_PAD src0_sel:WORD_1
	v_pk_mul_f32 v[12:13], v[6:7], v[20:21]
	v_pk_mul_f32 v[18:19], v[2:3], v[18:19]
	v_cvt_f16_f32_e32 v11, v19
	v_cvt_f16_f32_e32 v13, v13
	;; [unrolled: 1-line block ×4, first 2 shown]
	v_pack_b32_f16 v12, v12, v13
	v_pack_b32_f16 v11, v18, v11
	s_waitcnt vmcnt(0)
	v_pk_mul_f16 v13, v15, v12
	v_pk_mul_f16 v12, v14, v11
	global_store_dwordx2 v[16:17], v[12:13], off
	s_andn2_b64 exec, exec, s[2:3]
	s_cbranch_execnz .LBB7_28
.LBB7_29:
	s_endpgm
	.section	.rodata,"a",@progbits
	.p2align	6, 0x0
	.amdhsa_kernel _ZN4vllm15rms_norm_kernelIN3c104HalfELi4ELi2EEEvPT_PKS3_lllllS6_fii
		.amdhsa_group_segment_fixed_size 68
		.amdhsa_private_segment_fixed_size 0
		.amdhsa_kernarg_size 336
		.amdhsa_user_sgpr_count 6
		.amdhsa_user_sgpr_private_segment_buffer 1
		.amdhsa_user_sgpr_dispatch_ptr 0
		.amdhsa_user_sgpr_queue_ptr 0
		.amdhsa_user_sgpr_kernarg_segment_ptr 1
		.amdhsa_user_sgpr_dispatch_id 0
		.amdhsa_user_sgpr_flat_scratch_init 0
		.amdhsa_user_sgpr_kernarg_preload_length 0
		.amdhsa_user_sgpr_kernarg_preload_offset 0
		.amdhsa_user_sgpr_private_segment_size 0
		.amdhsa_uses_dynamic_stack 0
		.amdhsa_system_sgpr_private_segment_wavefront_offset 0
		.amdhsa_system_sgpr_workgroup_id_x 1
		.amdhsa_system_sgpr_workgroup_id_y 0
		.amdhsa_system_sgpr_workgroup_id_z 0
		.amdhsa_system_sgpr_workgroup_info 0
		.amdhsa_system_vgpr_workitem_id 0
		.amdhsa_next_free_vgpr 22
		.amdhsa_next_free_sgpr 21
		.amdhsa_accum_offset 24
		.amdhsa_reserve_vcc 1
		.amdhsa_reserve_flat_scratch 0
		.amdhsa_float_round_mode_32 0
		.amdhsa_float_round_mode_16_64 0
		.amdhsa_float_denorm_mode_32 3
		.amdhsa_float_denorm_mode_16_64 3
		.amdhsa_dx10_clamp 1
		.amdhsa_ieee_mode 1
		.amdhsa_fp16_overflow 0
		.amdhsa_tg_split 0
		.amdhsa_exception_fp_ieee_invalid_op 0
		.amdhsa_exception_fp_denorm_src 0
		.amdhsa_exception_fp_ieee_div_zero 0
		.amdhsa_exception_fp_ieee_overflow 0
		.amdhsa_exception_fp_ieee_underflow 0
		.amdhsa_exception_fp_ieee_inexact 0
		.amdhsa_exception_int_div_zero 0
	.end_amdhsa_kernel
	.section	.text._ZN4vllm15rms_norm_kernelIN3c104HalfELi4ELi2EEEvPT_PKS3_lllllS6_fii,"axG",@progbits,_ZN4vllm15rms_norm_kernelIN3c104HalfELi4ELi2EEEvPT_PKS3_lllllS6_fii,comdat
.Lfunc_end7:
	.size	_ZN4vllm15rms_norm_kernelIN3c104HalfELi4ELi2EEEvPT_PKS3_lllllS6_fii, .Lfunc_end7-_ZN4vllm15rms_norm_kernelIN3c104HalfELi4ELi2EEEvPT_PKS3_lllllS6_fii
                                        ; -- End function
	.section	.AMDGPU.csdata,"",@progbits
; Kernel info:
; codeLenInByte = 1840
; NumSgprs: 25
; NumVgprs: 22
; NumAgprs: 0
; TotalNumVgprs: 22
; ScratchSize: 0
; MemoryBound: 0
; FloatMode: 240
; IeeeMode: 1
; LDSByteSize: 68 bytes/workgroup (compile time only)
; SGPRBlocks: 3
; VGPRBlocks: 2
; NumSGPRsForWavesPerEU: 25
; NumVGPRsForWavesPerEU: 22
; AccumOffset: 24
; Occupancy: 8
; WaveLimiterHint : 0
; COMPUTE_PGM_RSRC2:SCRATCH_EN: 0
; COMPUTE_PGM_RSRC2:USER_SGPR: 6
; COMPUTE_PGM_RSRC2:TRAP_HANDLER: 0
; COMPUTE_PGM_RSRC2:TGID_X_EN: 1
; COMPUTE_PGM_RSRC2:TGID_Y_EN: 0
; COMPUTE_PGM_RSRC2:TGID_Z_EN: 0
; COMPUTE_PGM_RSRC2:TIDIG_COMP_CNT: 0
; COMPUTE_PGM_RSRC3_GFX90A:ACCUM_OFFSET: 5
; COMPUTE_PGM_RSRC3_GFX90A:TG_SPLIT: 0
	.section	.text._ZN4vllm15rms_norm_kernelIN3c104HalfELi2ELi2EEEvPT_PKS3_lllllS6_fii,"axG",@progbits,_ZN4vllm15rms_norm_kernelIN3c104HalfELi2ELi2EEEvPT_PKS3_lllllS6_fii,comdat
	.protected	_ZN4vllm15rms_norm_kernelIN3c104HalfELi2ELi2EEEvPT_PKS3_lllllS6_fii ; -- Begin function _ZN4vllm15rms_norm_kernelIN3c104HalfELi2ELi2EEEvPT_PKS3_lllllS6_fii
	.globl	_ZN4vllm15rms_norm_kernelIN3c104HalfELi2ELi2EEEvPT_PKS3_lllllS6_fii
	.p2align	8
	.type	_ZN4vllm15rms_norm_kernelIN3c104HalfELi2ELi2EEEvPT_PKS3_lllllS6_fii,@function
_ZN4vllm15rms_norm_kernelIN3c104HalfELi2ELi2EEEvPT_PKS3_lllllS6_fii: ; @_ZN4vllm15rms_norm_kernelIN3c104HalfELi2ELi2EEEvPT_PKS3_lllllS6_fii
; %bb.0:
	s_load_dwordx4 s[0:3], s[4:5], 0x8
	s_load_dword s7, s[4:5], 0x48
	s_load_dword s10, s[4:5], 0x5c
	s_mov_b32 s11, 0
	s_waitcnt lgkmcnt(0)
	s_mul_i32 s3, s6, s3
	s_mul_hi_u32 s8, s6, s2
	s_add_i32 s3, s8, s3
	s_mul_i32 s2, s6, s2
	s_lshl_b64 s[8:9], s[2:3], 1
	s_add_u32 s2, s0, s8
	s_addc_u32 s3, s1, s9
	s_and_b32 s16, s10, 0xffff
	s_and_b32 s10, s2, 3
	s_cmp_lg_u64 s[10:11], 0
	s_cselect_b64 s[10:11], -1, 0
	s_bitcmp1_b32 s7, 0
	s_cselect_b64 s[12:13], -1, 0
	s_or_b64 s[10:11], s[10:11], s[12:13]
	s_and_b64 vcc, exec, s[10:11]
	s_cbranch_vccz .LBB8_13
; %bb.1:
	s_sub_i32 s10, 0, s2
	s_bfe_u32 s10, s10, 0x10001
	s_min_i32 s10, s10, s7
	v_cmp_gt_i32_e32 vcc, s10, v0
	v_mov_b32_e32 v1, 0
	s_and_saveexec_b64 s[12:13], vcc
	s_cbranch_execz .LBB8_4
; %bb.2:
	s_lshl_b32 s11, s16, 1
	s_mov_b32 s17, 0
	v_mov_b32_e32 v2, 0
	s_mov_b64 s[14:15], s[2:3]
	v_mov_b32_e32 v1, 0
.LBB8_3:                                ; =>This Inner Loop Header: Depth=1
	global_load_ushort v3, v2, s[14:15]
	s_add_i32 s17, s17, s16
	s_add_u32 s14, s14, s11
	s_addc_u32 s15, s15, 0
	s_cmp_ge_i32 s17, s10
	s_waitcnt vmcnt(0)
	v_fma_mix_f32 v1, v3, v3, v1 op_sel_hi:[1,1,0]
	s_cbranch_scc0 .LBB8_3
.LBB8_4:
	s_or_b64 exec, exec, s[12:13]
	s_sub_i32 s17, s7, s10
	s_lshr_b32 s12, s17, 31
	s_add_i32 s12, s17, s12
	s_ashr_i32 s18, s12, 1
	s_ashr_i32 s11, s10, 31
	v_cmp_gt_i32_e32 vcc, s18, v0
	s_and_saveexec_b64 s[12:13], vcc
	s_cbranch_execz .LBB8_8
; %bb.5:
	s_lshl_b64 s[14:15], s[10:11], 1
	s_add_u32 s14, s0, s14
	s_addc_u32 s15, s1, s15
	s_add_u32 s14, s14, s8
	v_lshlrev_b32_e32 v2, 2, v0
	s_addc_u32 s15, s15, s9
	v_mov_b32_e32 v3, s15
	v_add_co_u32_e32 v2, vcc, s14, v2
	v_addc_co_u32_e32 v3, vcc, 0, v3, vcc
	s_mov_b32 s20, 0
	v_add_co_u32_e32 v2, vcc, 2, v2
	v_addc_co_u32_e32 v3, vcc, 0, v3, vcc
	s_lshl_b32 s19, s16, 2
	s_mov_b64 s[14:15], 0
	v_mov_b32_e32 v4, s20
	v_mov_b32_e32 v5, v0
.LBB8_6:                                ; =>This Inner Loop Header: Depth=1
	global_load_dword v6, v[2:3], off offset:-2
	v_add_co_u32_e32 v2, vcc, s19, v2
	v_add_u32_e32 v5, s16, v5
	v_addc_co_u32_e32 v3, vcc, v3, v4, vcc
	v_cmp_le_i32_e32 vcc, s18, v5
	s_or_b64 s[14:15], vcc, s[14:15]
	s_waitcnt vmcnt(0)
	v_fma_mix_f32 v1, v6, v6, v1 op_sel_hi:[1,1,0]
	v_fma_mix_f32 v1, v6, v6, v1 op_sel:[1,1,0] op_sel_hi:[1,1,0]
	s_andn2_b64 exec, exec, s[14:15]
	s_cbranch_execnz .LBB8_6
; %bb.7:
	s_or_b64 exec, exec, s[14:15]
.LBB8_8:
	s_or_b64 exec, exec, s[12:13]
	v_lshl_add_u32 v2, s18, 1, v0
	v_cmp_gt_i32_e32 vcc, s17, v2
	s_and_saveexec_b64 s[12:13], vcc
	s_cbranch_execz .LBB8_12
; %bb.9:
	s_lshl_b64 s[10:11], s[10:11], 1
	s_add_u32 s10, s8, s10
	s_addc_u32 s11, s9, s11
	v_ashrrev_i32_e32 v3, 31, v2
	s_add_u32 s10, s0, s10
	v_lshlrev_b64 v[4:5], 1, v[2:3]
	s_addc_u32 s11, s1, s11
	v_mov_b32_e32 v3, s11
	v_add_co_u32_e32 v4, vcc, s10, v4
	s_mov_b32 s15, 0
	v_addc_co_u32_e32 v5, vcc, v3, v5, vcc
	s_lshl_b32 s14, s16, 1
	s_mov_b64 s[10:11], 0
	v_mov_b32_e32 v3, s15
.LBB8_10:                               ; =>This Inner Loop Header: Depth=1
	global_load_ushort v6, v[4:5], off
	v_add_co_u32_e32 v4, vcc, s14, v4
	v_add_u32_e32 v2, s16, v2
	v_addc_co_u32_e32 v5, vcc, v5, v3, vcc
	v_cmp_le_i32_e32 vcc, s17, v2
	s_or_b64 s[10:11], vcc, s[10:11]
	s_waitcnt vmcnt(0)
	v_fma_mix_f32 v1, v6, v6, v1 op_sel_hi:[1,1,0]
	s_andn2_b64 exec, exec, s[10:11]
	s_cbranch_execnz .LBB8_10
; %bb.11:
	s_or_b64 exec, exec, s[10:11]
.LBB8_12:
	s_or_b64 exec, exec, s[12:13]
	s_branch .LBB8_19
.LBB8_13:
                                        ; implicit-def: $vgpr1
	s_cbranch_execz .LBB8_19
; %bb.14:
	s_ashr_i32 s12, s7, 1
	v_cmp_gt_i32_e32 vcc, s12, v0
	v_mov_b32_e32 v1, 0
	s_and_saveexec_b64 s[10:11], vcc
	s_cbranch_execz .LBB8_18
; %bb.15:
	s_add_u32 s0, s0, s8
	v_lshlrev_b32_e32 v1, 2, v0
	s_addc_u32 s1, s1, s9
	v_mov_b32_e32 v2, s1
	v_add_co_u32_e32 v1, vcc, s0, v1
	v_addc_co_u32_e32 v3, vcc, 0, v2, vcc
	s_mov_b32 s13, 0
	v_add_co_u32_e32 v2, vcc, 2, v1
	v_addc_co_u32_e32 v3, vcc, 0, v3, vcc
	s_lshl_b32 s8, s16, 2
	s_mov_b64 s[0:1], 0
	v_mov_b32_e32 v1, 0
	v_mov_b32_e32 v4, s13
	v_mov_b32_e32 v5, v0
.LBB8_16:                               ; =>This Inner Loop Header: Depth=1
	global_load_dword v6, v[2:3], off offset:-2
	v_add_co_u32_e32 v2, vcc, s8, v2
	v_add_u32_e32 v5, s16, v5
	v_addc_co_u32_e32 v3, vcc, v3, v4, vcc
	v_cmp_le_i32_e32 vcc, s12, v5
	s_or_b64 s[0:1], vcc, s[0:1]
	s_waitcnt vmcnt(0)
	v_fma_mix_f32 v1, v6, v6, v1 op_sel_hi:[1,1,0]
	v_fma_mix_f32 v1, v6, v6, v1 op_sel:[1,1,0] op_sel_hi:[1,1,0]
	s_andn2_b64 exec, exec, s[0:1]
	s_cbranch_execnz .LBB8_16
; %bb.17:
	s_or_b64 exec, exec, s[0:1]
.LBB8_18:
	s_or_b64 exec, exec, s[10:11]
.LBB8_19:
	v_mbcnt_lo_u32_b32 v2, -1, 0
	v_mbcnt_hi_u32_b32 v2, -1, v2
	v_and_b32_e32 v3, 63, v2
	v_cmp_ne_u32_e32 vcc, 63, v3
	v_addc_co_u32_e32 v4, vcc, 0, v2, vcc
	v_lshlrev_b32_e32 v4, 2, v4
	ds_bpermute_b32 v4, v4, v1
	v_and_b32_e32 v5, 0x3c0, v0
	v_sub_u32_e64 v5, s16, v5 clamp
	v_add_u32_e32 v6, 1, v2
	v_cmp_lt_u32_e32 vcc, v6, v5
	s_waitcnt lgkmcnt(0)
	v_add_f32_e32 v4, v1, v4
	v_cndmask_b32_e32 v1, v1, v4, vcc
	v_cmp_gt_u32_e32 vcc, 62, v3
	v_cndmask_b32_e64 v4, 0, 1, vcc
	v_lshlrev_b32_e32 v4, 1, v4
	v_add_lshl_u32 v4, v4, v2, 2
	ds_bpermute_b32 v4, v4, v1
	v_add_u32_e32 v6, 2, v2
	v_cmp_lt_u32_e32 vcc, v6, v5
	v_add_u32_e32 v6, 4, v2
	s_waitcnt lgkmcnt(0)
	v_add_f32_e32 v4, v1, v4
	v_cndmask_b32_e32 v1, v1, v4, vcc
	v_cmp_gt_u32_e32 vcc, 60, v3
	v_cndmask_b32_e64 v4, 0, 1, vcc
	v_lshlrev_b32_e32 v4, 2, v4
	v_add_lshl_u32 v4, v4, v2, 2
	ds_bpermute_b32 v4, v4, v1
	v_cmp_lt_u32_e32 vcc, v6, v5
	v_add_u32_e32 v6, 8, v2
	s_waitcnt lgkmcnt(0)
	v_add_f32_e32 v4, v1, v4
	v_cndmask_b32_e32 v1, v1, v4, vcc
	v_cmp_gt_u32_e32 vcc, 56, v3
	v_cndmask_b32_e64 v4, 0, 1, vcc
	v_lshlrev_b32_e32 v4, 3, v4
	v_add_lshl_u32 v4, v4, v2, 2
	ds_bpermute_b32 v4, v4, v1
	;; [unrolled: 10-line block ×3, first 2 shown]
	v_cmp_lt_u32_e32 vcc, v6, v5
	s_waitcnt lgkmcnt(0)
	v_add_f32_e32 v4, v1, v4
	v_cndmask_b32_e32 v1, v1, v4, vcc
	v_cmp_gt_u32_e32 vcc, 32, v3
	v_cndmask_b32_e64 v3, 0, 1, vcc
	v_lshlrev_b32_e32 v3, 5, v3
	v_add_lshl_u32 v3, v3, v2, 2
	ds_bpermute_b32 v3, v3, v1
	v_add_u32_e32 v4, 32, v2
	v_cmp_lt_u32_e32 vcc, v4, v5
	s_waitcnt lgkmcnt(0)
	v_add_f32_e32 v3, v1, v3
	v_cndmask_b32_e32 v1, v1, v3, vcc
	v_cmp_eq_u32_e32 vcc, 0, v2
	s_and_saveexec_b64 s[0:1], vcc
	s_cbranch_execz .LBB8_21
; %bb.20:
	v_lshrrev_b32_e32 v3, 4, v0
	v_and_b32_e32 v3, 60, v3
	ds_write_b32 v3, v1
.LBB8_21:
	s_or_b64 exec, exec, s[0:1]
	v_cmp_gt_u32_e32 vcc, 16, v0
	s_waitcnt lgkmcnt(0)
	s_barrier
	s_and_saveexec_b64 s[8:9], vcc
	s_cbranch_execz .LBB8_23
; %bb.22:
	v_lshlrev_b32_e32 v1, 2, v2
	ds_read_b32 v1, v1
	v_and_b32_e32 v3, 15, v2
	v_cmp_ne_u32_e32 vcc, 15, v3
	v_addc_co_u32_e32 v4, vcc, 0, v2, vcc
	v_lshlrev_b32_e32 v4, 2, v4
	s_waitcnt lgkmcnt(0)
	ds_bpermute_b32 v4, v4, v1
	s_add_i32 s0, s16, 63
	s_lshr_b32 s10, s0, 6
	v_add_u32_e32 v5, 1, v3
	v_cmp_gt_u32_e64 s[0:1], 14, v3
	v_cmp_gt_u32_e32 vcc, s10, v5
	v_cndmask_b32_e64 v5, 0, 1, s[0:1]
	s_waitcnt lgkmcnt(0)
	v_add_f32_e32 v4, v1, v4
	v_lshlrev_b32_e32 v5, 1, v5
	v_cndmask_b32_e32 v4, v1, v4, vcc
	v_add_lshl_u32 v5, v5, v2, 2
	ds_bpermute_b32 v5, v5, v4
	v_add_u32_e32 v6, 2, v3
	v_cmp_gt_u32_e64 s[0:1], s10, v6
	v_add_u32_e32 v6, 4, v3
	s_waitcnt lgkmcnt(0)
	v_add_f32_e32 v5, v4, v5
	v_cndmask_b32_e64 v4, v4, v5, s[0:1]
	v_cmp_gt_u32_e64 s[0:1], 12, v3
	v_cndmask_b32_e64 v5, 0, 1, s[0:1]
	v_lshlrev_b32_e32 v5, 2, v5
	v_add_lshl_u32 v5, v5, v2, 2
	ds_bpermute_b32 v5, v5, v4
	v_cmp_gt_u32_e64 s[0:1], s10, v6
	s_waitcnt lgkmcnt(0)
	v_add_f32_e32 v5, v4, v5
	v_cndmask_b32_e64 v4, v4, v5, s[0:1]
	v_cmp_gt_u32_e64 s[0:1], 8, v3
	v_cndmask_b32_e64 v5, 0, 1, s[0:1]
	v_lshlrev_b32_e32 v5, 3, v5
	v_add_lshl_u32 v2, v5, v2, 2
	ds_bpermute_b32 v2, v2, v4
	v_add_u32_e32 v3, 8, v3
	v_cmp_gt_u32_e64 s[0:1], s10, v3
	s_waitcnt lgkmcnt(0)
	v_add_f32_e32 v2, v4, v2
	v_cndmask_b32_e64 v2, v4, v2, s[0:1]
	v_cndmask_b32_e32 v1, v1, v2, vcc
.LBB8_23:
	s_or_b64 exec, exec, s[8:9]
	v_cmp_eq_u32_e32 vcc, 0, v0
	s_and_saveexec_b64 s[0:1], vcc
	s_cbranch_execz .LBB8_25
; %bb.24:
	v_cvt_f32_i32_e32 v2, s7
	s_load_dword s10, s[4:5], 0x40
	v_div_scale_f32 v3, s[8:9], v2, v2, v1
	v_rcp_f32_e32 v4, v3
	v_div_scale_f32 v5, vcc, v1, v2, v1
	s_mov_b32 s8, 0x800000
	v_fma_f32 v6, -v3, v4, 1.0
	v_fmac_f32_e32 v4, v6, v4
	v_mul_f32_e32 v6, v5, v4
	v_fma_f32 v7, -v3, v6, v5
	v_fmac_f32_e32 v6, v7, v4
	v_fma_f32 v3, -v3, v6, v5
	v_div_fmas_f32 v3, v3, v4, v6
	v_div_fixup_f32 v1, v3, v2, v1
	s_waitcnt lgkmcnt(0)
	v_add_f32_e32 v1, s10, v1
	v_mul_f32_e32 v2, 0x4b800000, v1
	v_cmp_gt_f32_e32 vcc, s8, v1
	v_cndmask_b32_e32 v1, v1, v2, vcc
	v_rsq_f32_e32 v1, v1
	v_mul_f32_e32 v2, 0x45800000, v1
	v_cndmask_b32_e32 v1, v1, v2, vcc
	v_mov_b32_e32 v2, 0
	ds_write_b32 v2, v1 offset:64
.LBB8_25:
	s_or_b64 exec, exec, s[0:1]
	s_lshr_b32 s0, s7, 31
	s_add_i32 s0, s7, s0
	s_ashr_i32 s12, s0, 1
	v_cmp_gt_i32_e32 vcc, s12, v0
	s_waitcnt lgkmcnt(0)
	s_barrier
	s_and_saveexec_b64 s[0:1], vcc
	s_cbranch_execz .LBB8_35
; %bb.26:
	v_cvt_f32_u32_e32 v1, s16
	s_load_dwordx2 s[0:1], s[4:5], 0x0
	s_load_dwordx2 s[8:9], s[4:5], 0x38
	s_mul_i32 s4, s6, s7
	s_mov_b32 s5, 0
	v_rcp_iflag_f32_e32 v1, v1
	s_lshl_b64 s[4:5], s[4:5], 1
	v_add_u32_e32 v3, s16, v0
	s_waitcnt lgkmcnt(0)
	s_add_u32 s13, s0, s4
	v_mul_f32_e32 v1, 0x4f7ffffe, v1
	v_cvt_u32_f32_e32 v1, v1
	v_mov_b32_e32 v5, s16
	v_cmp_gt_i32_e32 vcc, s12, v3
	s_addc_u32 s14, s1, s5
	v_max_i32_e32 v4, s12, v3
	v_addc_co_u32_e64 v3, s[0:1], v0, v5, vcc
	s_sub_i32 s0, 0, s16
	v_sub_u32_e32 v3, v4, v3
	v_mul_lo_u32 v4, s0, v1
	v_mul_hi_u32 v4, v1, v4
	v_add_u32_e32 v1, v1, v4
	v_mul_hi_u32 v1, v3, v1
	v_mul_lo_u32 v4, v1, s16
	v_sub_u32_e32 v3, v3, v4
	v_add_u32_e32 v4, 1, v1
	v_cmp_le_u32_e64 s[0:1], s16, v3
	v_cndmask_b32_e64 v1, v1, v4, s[0:1]
	v_subrev_u32_e32 v4, s16, v3
	v_mov_b32_e32 v2, 0
	v_cndmask_b32_e64 v3, v3, v4, s[0:1]
	ds_read_b32 v2, v2 offset:64
	v_add_u32_e32 v4, 1, v1
	v_cmp_le_u32_e64 s[0:1], s16, v3
	v_cndmask_b32_e64 v1, v1, v4, s[0:1]
	v_addc_co_u32_e32 v8, vcc, 1, v1, vcc
	s_cmp_lg_u32 s16, 1
	v_cmp_gt_u32_e32 vcc, 2, v8
	s_cselect_b64 s[0:1], -1, 0
	s_or_b64 s[0:1], vcc, s[0:1]
	s_mov_b64 s[4:5], 0
	s_and_saveexec_b64 s[6:7], s[0:1]
	s_xor_b64 s[0:1], exec, s[6:7]
	s_cbranch_execnz .LBB8_29
; %bb.27:
	s_andn2_saveexec_b64 s[6:7], s[0:1]
	s_cbranch_execnz .LBB8_30
.LBB8_28:
	s_or_b64 exec, exec, s[6:7]
	s_and_b64 exec, exec, s[4:5]
	s_cbranch_execnz .LBB8_33
	s_branch .LBB8_35
.LBB8_29:
	s_mov_b64 s[4:5], exec
                                        ; implicit-def: $vgpr8
	s_andn2_saveexec_b64 s[6:7], s[0:1]
	s_cbranch_execz .LBB8_28
.LBB8_30:
	v_and_b32_e32 v9, -2, v8
	v_add_u32_e32 v1, 1, v0
	s_waitcnt lgkmcnt(0)
	v_mov_b32_e32 v3, v2
	s_mov_b64 s[10:11], 0
	v_mov_b32_e32 v10, s3
	v_mov_b32_e32 v11, s9
	s_mov_b32 s15, 0x5040100
	s_mov_b32 s17, 0x7060302
	v_mov_b32_e32 v12, s14
	v_mov_b32_e32 v5, 0
	v_mov_b32_e32 v13, v9
	v_pk_mov_b32 v[6:7], v[0:1], v[0:1] op_sel:[0,1]
.LBB8_31:                               ; =>This Inner Loop Header: Depth=1
	v_mov_b32_e32 v4, v6
	v_lshlrev_b64 v[14:15], 2, v[4:5]
	v_add_co_u32_e32 v16, vcc, s2, v14
	v_addc_co_u32_e32 v17, vcc, v10, v15, vcc
	v_mov_b32_e32 v4, v7
	v_add_co_u32_e32 v20, vcc, s8, v14
	v_lshlrev_b64 v[18:19], 2, v[4:5]
	v_addc_co_u32_e32 v21, vcc, v11, v15, vcc
	v_add_co_u32_e32 v22, vcc, s2, v18
	v_addc_co_u32_e32 v23, vcc, v10, v19, vcc
	v_add_co_u32_e32 v24, vcc, s8, v18
	v_addc_co_u32_e32 v25, vcc, v11, v19, vcc
	global_load_dword v1, v[16:17], off
	global_load_dword v4, v[20:21], off
	;; [unrolled: 1-line block ×4, first 2 shown]
	v_add_u32_e32 v13, -2, v13
	v_cmp_eq_u32_e32 vcc, 0, v13
	s_or_b64 s[10:11], vcc, s[10:11]
	v_add_co_u32_e32 v16, vcc, s13, v18
	v_addc_co_u32_e32 v17, vcc, v12, v19, vcc
	v_add_co_u32_e64 v14, s[0:1], s13, v14
	v_add_u32_e32 v6, 2, v6
	v_add_u32_e32 v7, 2, v7
	v_addc_co_u32_e64 v15, s[0:1], v12, v15, s[0:1]
	s_waitcnt vmcnt(3)
	v_cvt_f32_f16_e32 v18, v1
	v_cvt_f32_f16_sdwa v20, v1 dst_sel:DWORD dst_unused:UNUSED_PAD src0_sel:WORD_1
	s_waitcnt vmcnt(1)
	v_cvt_f32_f16_e32 v19, v26
	v_cvt_f32_f16_sdwa v21, v26 dst_sel:DWORD dst_unused:UNUSED_PAD src0_sel:WORD_1
	s_waitcnt vmcnt(0)
	v_perm_b32 v1, v27, v4, s15
	v_perm_b32 v4, v27, v4, s17
	v_pk_mul_f32 v[18:19], v[2:3], v[18:19]
	v_pk_mul_f32 v[20:21], v[2:3], v[20:21]
	v_cvt_f16_f32_e32 v19, v19
	v_cvt_f16_f32_e32 v18, v18
	;; [unrolled: 1-line block ×4, first 2 shown]
	v_pack_b32_f16 v18, v18, v19
	v_pk_mul_f16 v1, v1, v18
	v_pack_b32_f16 v19, v20, v21
	v_pk_mul_f16 v4, v4, v19
	v_pack_b32_f16 v18, v1, v4
	v_perm_b32 v1, v4, v1, s17
	global_store_dword v[14:15], v18, off
	global_store_dword v[16:17], v1, off
	s_andn2_b64 exec, exec, s[10:11]
	s_cbranch_execnz .LBB8_31
; %bb.32:
	s_or_b64 exec, exec, s[10:11]
	v_cmp_ne_u32_e32 vcc, v8, v9
	s_andn2_b64 s[0:1], s[4:5], exec
	s_and_b64 s[4:5], vcc, exec
	v_add_u32_e32 v0, v0, v9
	s_or_b64 s[4:5], s[0:1], s[4:5]
	s_or_b64 exec, exec, s[6:7]
	s_and_b64 exec, exec, s[4:5]
	s_cbranch_execz .LBB8_35
.LBB8_33:
	s_mov_b32 s5, 0
	v_mov_b32_e32 v1, 0
	s_waitcnt lgkmcnt(0)
	v_mov_b32_e32 v3, v2
	v_lshlrev_b64 v[4:5], 2, v[0:1]
	s_lshl_b32 s4, s16, 2
	s_mov_b64 s[0:1], 0
	v_mov_b32_e32 v1, s3
	v_mov_b32_e32 v6, s9
	;; [unrolled: 1-line block ×4, first 2 shown]
.LBB8_34:                               ; =>This Inner Loop Header: Depth=1
	v_add_co_u32_e32 v10, vcc, s2, v4
	v_addc_co_u32_e32 v11, vcc, v1, v5, vcc
	global_load_dword v9, v[10:11], off
	v_add_co_u32_e32 v10, vcc, s8, v4
	v_addc_co_u32_e32 v11, vcc, v6, v5, vcc
	global_load_dword v14, v[10:11], off
	v_add_co_u32_e32 v10, vcc, s13, v4
	v_addc_co_u32_e32 v11, vcc, v7, v5, vcc
	v_add_co_u32_e32 v4, vcc, s4, v4
	v_add_u32_e32 v0, s16, v0
	v_addc_co_u32_e32 v5, vcc, v5, v8, vcc
	v_cmp_le_i32_e32 vcc, s12, v0
	s_or_b64 s[0:1], vcc, s[0:1]
	s_waitcnt vmcnt(1)
	v_cvt_f32_f16_e32 v12, v9
	v_cvt_f32_f16_sdwa v13, v9 dst_sel:DWORD dst_unused:UNUSED_PAD src0_sel:WORD_1
	v_pk_mul_f32 v[12:13], v[2:3], v[12:13]
	v_cvt_f16_f32_e32 v9, v13
	v_cvt_f16_f32_e32 v12, v12
	v_pack_b32_f16 v9, v12, v9
	s_waitcnt vmcnt(0)
	v_pk_mul_f16 v9, v14, v9
	global_store_dword v[10:11], v9, off
	s_andn2_b64 exec, exec, s[0:1]
	s_cbranch_execnz .LBB8_34
.LBB8_35:
	s_endpgm
	.section	.rodata,"a",@progbits
	.p2align	6, 0x0
	.amdhsa_kernel _ZN4vllm15rms_norm_kernelIN3c104HalfELi2ELi2EEEvPT_PKS3_lllllS6_fii
		.amdhsa_group_segment_fixed_size 68
		.amdhsa_private_segment_fixed_size 0
		.amdhsa_kernarg_size 336
		.amdhsa_user_sgpr_count 6
		.amdhsa_user_sgpr_private_segment_buffer 1
		.amdhsa_user_sgpr_dispatch_ptr 0
		.amdhsa_user_sgpr_queue_ptr 0
		.amdhsa_user_sgpr_kernarg_segment_ptr 1
		.amdhsa_user_sgpr_dispatch_id 0
		.amdhsa_user_sgpr_flat_scratch_init 0
		.amdhsa_user_sgpr_kernarg_preload_length 0
		.amdhsa_user_sgpr_kernarg_preload_offset 0
		.amdhsa_user_sgpr_private_segment_size 0
		.amdhsa_uses_dynamic_stack 0
		.amdhsa_system_sgpr_private_segment_wavefront_offset 0
		.amdhsa_system_sgpr_workgroup_id_x 1
		.amdhsa_system_sgpr_workgroup_id_y 0
		.amdhsa_system_sgpr_workgroup_id_z 0
		.amdhsa_system_sgpr_workgroup_info 0
		.amdhsa_system_vgpr_workitem_id 0
		.amdhsa_next_free_vgpr 28
		.amdhsa_next_free_sgpr 21
		.amdhsa_accum_offset 28
		.amdhsa_reserve_vcc 1
		.amdhsa_reserve_flat_scratch 0
		.amdhsa_float_round_mode_32 0
		.amdhsa_float_round_mode_16_64 0
		.amdhsa_float_denorm_mode_32 3
		.amdhsa_float_denorm_mode_16_64 3
		.amdhsa_dx10_clamp 1
		.amdhsa_ieee_mode 1
		.amdhsa_fp16_overflow 0
		.amdhsa_tg_split 0
		.amdhsa_exception_fp_ieee_invalid_op 0
		.amdhsa_exception_fp_denorm_src 0
		.amdhsa_exception_fp_ieee_div_zero 0
		.amdhsa_exception_fp_ieee_overflow 0
		.amdhsa_exception_fp_ieee_underflow 0
		.amdhsa_exception_fp_ieee_inexact 0
		.amdhsa_exception_int_div_zero 0
	.end_amdhsa_kernel
	.section	.text._ZN4vllm15rms_norm_kernelIN3c104HalfELi2ELi2EEEvPT_PKS3_lllllS6_fii,"axG",@progbits,_ZN4vllm15rms_norm_kernelIN3c104HalfELi2ELi2EEEvPT_PKS3_lllllS6_fii,comdat
.Lfunc_end8:
	.size	_ZN4vllm15rms_norm_kernelIN3c104HalfELi2ELi2EEEvPT_PKS3_lllllS6_fii, .Lfunc_end8-_ZN4vllm15rms_norm_kernelIN3c104HalfELi2ELi2EEEvPT_PKS3_lllllS6_fii
                                        ; -- End function
	.section	.AMDGPU.csdata,"",@progbits
; Kernel info:
; codeLenInByte = 2324
; NumSgprs: 25
; NumVgprs: 28
; NumAgprs: 0
; TotalNumVgprs: 28
; ScratchSize: 0
; MemoryBound: 0
; FloatMode: 240
; IeeeMode: 1
; LDSByteSize: 68 bytes/workgroup (compile time only)
; SGPRBlocks: 3
; VGPRBlocks: 3
; NumSGPRsForWavesPerEU: 25
; NumVGPRsForWavesPerEU: 28
; AccumOffset: 28
; Occupancy: 8
; WaveLimiterHint : 0
; COMPUTE_PGM_RSRC2:SCRATCH_EN: 0
; COMPUTE_PGM_RSRC2:USER_SGPR: 6
; COMPUTE_PGM_RSRC2:TRAP_HANDLER: 0
; COMPUTE_PGM_RSRC2:TGID_X_EN: 1
; COMPUTE_PGM_RSRC2:TGID_Y_EN: 0
; COMPUTE_PGM_RSRC2:TGID_Z_EN: 0
; COMPUTE_PGM_RSRC2:TIDIG_COMP_CNT: 0
; COMPUTE_PGM_RSRC3_GFX90A:ACCUM_OFFSET: 6
; COMPUTE_PGM_RSRC3_GFX90A:TG_SPLIT: 0
	.section	.text._ZN4vllm15rms_norm_kernelIN3c104HalfELi1ELi2EEEvPT_PKS3_lllllS6_fii,"axG",@progbits,_ZN4vllm15rms_norm_kernelIN3c104HalfELi1ELi2EEEvPT_PKS3_lllllS6_fii,comdat
	.protected	_ZN4vllm15rms_norm_kernelIN3c104HalfELi1ELi2EEEvPT_PKS3_lllllS6_fii ; -- Begin function _ZN4vllm15rms_norm_kernelIN3c104HalfELi1ELi2EEEvPT_PKS3_lllllS6_fii
	.globl	_ZN4vllm15rms_norm_kernelIN3c104HalfELi1ELi2EEEvPT_PKS3_lllllS6_fii
	.p2align	8
	.type	_ZN4vllm15rms_norm_kernelIN3c104HalfELi1ELi2EEEvPT_PKS3_lllllS6_fii,@function
_ZN4vllm15rms_norm_kernelIN3c104HalfELi1ELi2EEEvPT_PKS3_lllllS6_fii: ; @_ZN4vllm15rms_norm_kernelIN3c104HalfELi1ELi2EEEvPT_PKS3_lllllS6_fii
; %bb.0:
	s_load_dwordx4 s[8:11], s[4:5], 0x8
	s_load_dword s7, s[4:5], 0x48
	s_load_dword s13, s[4:5], 0x5c
	s_waitcnt lgkmcnt(0)
	s_mul_i32 s0, s6, s11
	s_mul_hi_u32 s1, s6, s10
	s_add_i32 s1, s1, s0
	s_mul_i32 s0, s6, s10
	s_lshl_b64 s[2:3], s[0:1], 1
	s_add_u32 s12, s8, s2
	s_addc_u32 s14, s9, s3
	s_and_b32 s13, s13, 0xffff
	s_bitcmp1_b32 s12, 0
	s_cselect_b64 s[0:1], -1, 0
	s_and_b64 vcc, exec, s[0:1]
	s_cbranch_vccz .LBB9_6
; %bb.1:
	s_min_i32 s10, s7, 0
	s_sub_i32 s15, s7, s10
	s_mov_b32 s17, 0
	v_cmp_gt_i32_e32 vcc, s15, v0
	v_mov_b32_e32 v4, 0
	s_and_saveexec_b64 s[0:1], vcc
	s_cbranch_execz .LBB9_5
; %bb.2:
	s_ashr_i32 s11, s10, 31
	s_lshl_b64 s[10:11], s[10:11], 1
	s_add_u32 s10, s2, s10
	s_addc_u32 s11, s3, s11
	s_add_u32 s10, s8, s10
	v_lshlrev_b32_e32 v1, 1, v0
	s_addc_u32 s11, s9, s11
	v_mov_b32_e32 v3, s11
	v_add_co_u32_e32 v2, vcc, s10, v1
	v_addc_co_u32_e32 v3, vcc, 0, v3, vcc
	s_lshl_b32 s16, s13, 1
	s_mov_b64 s[10:11], 0
	v_mov_b32_e32 v4, 0
	v_mov_b32_e32 v1, s17
	;; [unrolled: 1-line block ×3, first 2 shown]
.LBB9_3:                                ; =>This Inner Loop Header: Depth=1
	global_load_ushort v6, v[2:3], off
	v_add_co_u32_e32 v2, vcc, s16, v2
	v_add_u32_e32 v5, s13, v5
	v_addc_co_u32_e32 v3, vcc, v3, v1, vcc
	v_cmp_le_i32_e32 vcc, s15, v5
	s_or_b64 s[10:11], vcc, s[10:11]
	s_waitcnt vmcnt(0)
	v_fma_mix_f32 v4, v6, v6, v4 op_sel_hi:[1,1,0]
	s_andn2_b64 exec, exec, s[10:11]
	s_cbranch_execnz .LBB9_3
; %bb.4:
	s_or_b64 exec, exec, s[10:11]
.LBB9_5:
	s_or_b64 exec, exec, s[0:1]
	v_cmp_gt_i32_e64 s[0:1], s7, v0
	s_cbranch_execz .LBB9_7
	s_branch .LBB9_12
.LBB9_6:
                                        ; implicit-def: $vgpr4
	v_cmp_gt_i32_e64 s[0:1], s7, v0
.LBB9_7:
	v_mov_b32_e32 v4, 0
	s_and_saveexec_b64 s[10:11], s[0:1]
	s_cbranch_execz .LBB9_11
; %bb.8:
	s_add_u32 s0, s8, s2
	v_lshlrev_b32_e32 v1, 1, v0
	s_addc_u32 s1, s9, s3
	s_mov_b32 s15, 0
	v_mov_b32_e32 v3, s1
	v_add_co_u32_e32 v2, vcc, s0, v1
	v_addc_co_u32_e32 v3, vcc, 0, v3, vcc
	s_lshl_b32 s2, s13, 1
	s_mov_b64 s[0:1], 0
	v_mov_b32_e32 v4, 0
	v_mov_b32_e32 v1, s15
	;; [unrolled: 1-line block ×3, first 2 shown]
.LBB9_9:                                ; =>This Inner Loop Header: Depth=1
	global_load_ushort v6, v[2:3], off
	v_add_co_u32_e32 v2, vcc, s2, v2
	v_add_u32_e32 v5, s13, v5
	v_addc_co_u32_e32 v3, vcc, v3, v1, vcc
	v_cmp_le_i32_e32 vcc, s7, v5
	s_or_b64 s[0:1], vcc, s[0:1]
	s_waitcnt vmcnt(0)
	v_fma_mix_f32 v4, v6, v6, v4 op_sel_hi:[1,1,0]
	s_andn2_b64 exec, exec, s[0:1]
	s_cbranch_execnz .LBB9_9
; %bb.10:
	s_or_b64 exec, exec, s[0:1]
.LBB9_11:
	s_or_b64 exec, exec, s[10:11]
.LBB9_12:
	v_mbcnt_lo_u32_b32 v1, -1, 0
	v_mbcnt_hi_u32_b32 v1, -1, v1
	v_and_b32_e32 v2, 63, v1
	v_cmp_ne_u32_e32 vcc, 63, v2
	v_addc_co_u32_e32 v3, vcc, 0, v1, vcc
	v_lshlrev_b32_e32 v3, 2, v3
	ds_bpermute_b32 v3, v3, v4
	v_and_b32_e32 v5, 0x3c0, v0
	v_sub_u32_e64 v5, s13, v5 clamp
	v_add_u32_e32 v6, 1, v1
	v_cmp_lt_u32_e32 vcc, v6, v5
	s_waitcnt lgkmcnt(0)
	v_add_f32_e32 v3, v4, v3
	v_cndmask_b32_e32 v3, v4, v3, vcc
	v_cmp_gt_u32_e32 vcc, 62, v2
	v_cndmask_b32_e64 v4, 0, 1, vcc
	v_lshlrev_b32_e32 v4, 1, v4
	v_add_lshl_u32 v4, v4, v1, 2
	ds_bpermute_b32 v4, v4, v3
	v_add_u32_e32 v6, 2, v1
	v_cmp_lt_u32_e32 vcc, v6, v5
	v_add_u32_e32 v6, 4, v1
	s_waitcnt lgkmcnt(0)
	v_add_f32_e32 v4, v3, v4
	v_cndmask_b32_e32 v3, v3, v4, vcc
	v_cmp_gt_u32_e32 vcc, 60, v2
	v_cndmask_b32_e64 v4, 0, 1, vcc
	v_lshlrev_b32_e32 v4, 2, v4
	v_add_lshl_u32 v4, v4, v1, 2
	ds_bpermute_b32 v4, v4, v3
	v_cmp_lt_u32_e32 vcc, v6, v5
	v_add_u32_e32 v6, 8, v1
	s_waitcnt lgkmcnt(0)
	v_add_f32_e32 v4, v3, v4
	v_cndmask_b32_e32 v3, v3, v4, vcc
	v_cmp_gt_u32_e32 vcc, 56, v2
	v_cndmask_b32_e64 v4, 0, 1, vcc
	v_lshlrev_b32_e32 v4, 3, v4
	v_add_lshl_u32 v4, v4, v1, 2
	ds_bpermute_b32 v4, v4, v3
	;; [unrolled: 10-line block ×3, first 2 shown]
	v_cmp_lt_u32_e32 vcc, v6, v5
	s_waitcnt lgkmcnt(0)
	v_add_f32_e32 v4, v3, v4
	v_cndmask_b32_e32 v3, v3, v4, vcc
	v_cmp_gt_u32_e32 vcc, 32, v2
	v_cndmask_b32_e64 v2, 0, 1, vcc
	v_lshlrev_b32_e32 v2, 5, v2
	v_add_lshl_u32 v2, v2, v1, 2
	ds_bpermute_b32 v2, v2, v3
	v_add_u32_e32 v4, 32, v1
	v_cmp_lt_u32_e32 vcc, v4, v5
	s_waitcnt lgkmcnt(0)
	v_add_f32_e32 v2, v3, v2
	v_cndmask_b32_e32 v2, v3, v2, vcc
	v_cmp_eq_u32_e32 vcc, 0, v1
	s_and_saveexec_b64 s[0:1], vcc
	s_cbranch_execz .LBB9_14
; %bb.13:
	v_lshrrev_b32_e32 v3, 4, v0
	v_and_b32_e32 v3, 60, v3
	ds_write_b32 v3, v2
.LBB9_14:
	s_or_b64 exec, exec, s[0:1]
	v_cmp_gt_u32_e32 vcc, 16, v0
	s_waitcnt lgkmcnt(0)
	s_barrier
	s_and_saveexec_b64 s[2:3], vcc
	s_cbranch_execz .LBB9_16
; %bb.15:
	v_lshlrev_b32_e32 v2, 2, v1
	ds_read_b32 v2, v2
	v_and_b32_e32 v3, 15, v1
	v_cmp_ne_u32_e32 vcc, 15, v3
	v_addc_co_u32_e32 v4, vcc, 0, v1, vcc
	v_lshlrev_b32_e32 v4, 2, v4
	s_waitcnt lgkmcnt(0)
	ds_bpermute_b32 v4, v4, v2
	s_add_i32 s0, s13, 63
	s_lshr_b32 s8, s0, 6
	v_add_u32_e32 v5, 1, v3
	v_cmp_gt_u32_e64 s[0:1], 14, v3
	v_cmp_gt_u32_e32 vcc, s8, v5
	v_cndmask_b32_e64 v5, 0, 1, s[0:1]
	s_waitcnt lgkmcnt(0)
	v_add_f32_e32 v4, v2, v4
	v_lshlrev_b32_e32 v5, 1, v5
	v_cndmask_b32_e32 v4, v2, v4, vcc
	v_add_lshl_u32 v5, v5, v1, 2
	ds_bpermute_b32 v5, v5, v4
	v_add_u32_e32 v6, 2, v3
	v_cmp_gt_u32_e64 s[0:1], s8, v6
	v_add_u32_e32 v6, 4, v3
	s_waitcnt lgkmcnt(0)
	v_add_f32_e32 v5, v4, v5
	v_cndmask_b32_e64 v4, v4, v5, s[0:1]
	v_cmp_gt_u32_e64 s[0:1], 12, v3
	v_cndmask_b32_e64 v5, 0, 1, s[0:1]
	v_lshlrev_b32_e32 v5, 2, v5
	v_add_lshl_u32 v5, v5, v1, 2
	ds_bpermute_b32 v5, v5, v4
	v_cmp_gt_u32_e64 s[0:1], s8, v6
	s_waitcnt lgkmcnt(0)
	v_add_f32_e32 v5, v4, v5
	v_cndmask_b32_e64 v4, v4, v5, s[0:1]
	v_cmp_gt_u32_e64 s[0:1], 8, v3
	v_cndmask_b32_e64 v5, 0, 1, s[0:1]
	v_lshlrev_b32_e32 v5, 3, v5
	v_add_lshl_u32 v1, v5, v1, 2
	ds_bpermute_b32 v1, v1, v4
	v_add_u32_e32 v3, 8, v3
	v_cmp_gt_u32_e64 s[0:1], s8, v3
	s_waitcnt lgkmcnt(0)
	v_add_f32_e32 v1, v4, v1
	v_cndmask_b32_e64 v1, v4, v1, s[0:1]
	v_cndmask_b32_e32 v2, v2, v1, vcc
.LBB9_16:
	s_or_b64 exec, exec, s[2:3]
	v_cmp_eq_u32_e32 vcc, 0, v0
	s_and_saveexec_b64 s[0:1], vcc
	s_cbranch_execz .LBB9_18
; %bb.17:
	v_cvt_f32_i32_e32 v1, s7
	s_load_dword s8, s[4:5], 0x40
	v_div_scale_f32 v3, s[2:3], v1, v1, v2
	v_rcp_f32_e32 v4, v3
	v_div_scale_f32 v5, vcc, v2, v1, v2
	s_mov_b32 s2, 0x800000
	v_fma_f32 v6, -v3, v4, 1.0
	v_fmac_f32_e32 v4, v6, v4
	v_mul_f32_e32 v6, v5, v4
	v_fma_f32 v7, -v3, v6, v5
	v_fmac_f32_e32 v6, v7, v4
	v_fma_f32 v3, -v3, v6, v5
	v_div_fmas_f32 v3, v3, v4, v6
	v_div_fixup_f32 v1, v3, v1, v2
	s_waitcnt lgkmcnt(0)
	v_add_f32_e32 v1, s8, v1
	v_mul_f32_e32 v2, 0x4b800000, v1
	v_cmp_gt_f32_e32 vcc, s2, v1
	v_cndmask_b32_e32 v1, v1, v2, vcc
	v_rsq_f32_e32 v1, v1
	v_mul_f32_e32 v2, 0x45800000, v1
	v_cndmask_b32_e32 v1, v1, v2, vcc
	v_mov_b32_e32 v2, 0
	ds_write_b32 v2, v1 offset:64
.LBB9_18:
	s_or_b64 exec, exec, s[0:1]
	v_cmp_gt_i32_e32 vcc, s7, v0
	s_waitcnt lgkmcnt(0)
	s_barrier
	s_and_saveexec_b64 s[0:1], vcc
	s_cbranch_execz .LBB9_21
; %bb.19:
	s_load_dwordx2 s[2:3], s[4:5], 0x0
	s_load_dwordx2 s[0:1], s[4:5], 0x38
	v_mov_b32_e32 v1, 0
	s_mul_i32 s4, s6, s7
	s_mov_b32 s5, 0
	ds_read_b32 v2, v1 offset:64
	s_lshl_b64 s[4:5], s[4:5], 1
	s_waitcnt lgkmcnt(0)
	s_add_u32 s4, s2, s4
	s_addc_u32 s5, s3, s5
	s_mov_b64 s[2:3], 0
	v_mov_b32_e32 v3, s14
	v_mov_b32_e32 v4, s1
	;; [unrolled: 1-line block ×3, first 2 shown]
.LBB9_20:                               ; =>This Inner Loop Header: Depth=1
	v_ashrrev_i32_e32 v1, 31, v0
	v_lshlrev_b64 v[6:7], 1, v[0:1]
	v_add_co_u32_e32 v8, vcc, s12, v6
	v_addc_co_u32_e32 v9, vcc, v3, v7, vcc
	global_load_ushort v1, v[8:9], off
	v_add_co_u32_e32 v8, vcc, s0, v6
	v_addc_co_u32_e32 v9, vcc, v4, v7, vcc
	global_load_ushort v8, v[8:9], off
	v_add_co_u32_e32 v6, vcc, s4, v6
	v_add_u32_e32 v0, s13, v0
	v_addc_co_u32_e32 v7, vcc, v5, v7, vcc
	v_cmp_le_i32_e32 vcc, s7, v0
	s_or_b64 s[2:3], vcc, s[2:3]
	s_waitcnt vmcnt(1)
	v_fma_mixlo_f16 v1, v2, v1, 0 op_sel_hi:[0,1,0]
	s_waitcnt vmcnt(0)
	v_mul_f16_e32 v1, v8, v1
	global_store_short v[6:7], v1, off
	s_andn2_b64 exec, exec, s[2:3]
	s_cbranch_execnz .LBB9_20
.LBB9_21:
	s_endpgm
	.section	.rodata,"a",@progbits
	.p2align	6, 0x0
	.amdhsa_kernel _ZN4vllm15rms_norm_kernelIN3c104HalfELi1ELi2EEEvPT_PKS3_lllllS6_fii
		.amdhsa_group_segment_fixed_size 68
		.amdhsa_private_segment_fixed_size 0
		.amdhsa_kernarg_size 336
		.amdhsa_user_sgpr_count 6
		.amdhsa_user_sgpr_private_segment_buffer 1
		.amdhsa_user_sgpr_dispatch_ptr 0
		.amdhsa_user_sgpr_queue_ptr 0
		.amdhsa_user_sgpr_kernarg_segment_ptr 1
		.amdhsa_user_sgpr_dispatch_id 0
		.amdhsa_user_sgpr_flat_scratch_init 0
		.amdhsa_user_sgpr_kernarg_preload_length 0
		.amdhsa_user_sgpr_kernarg_preload_offset 0
		.amdhsa_user_sgpr_private_segment_size 0
		.amdhsa_uses_dynamic_stack 0
		.amdhsa_system_sgpr_private_segment_wavefront_offset 0
		.amdhsa_system_sgpr_workgroup_id_x 1
		.amdhsa_system_sgpr_workgroup_id_y 0
		.amdhsa_system_sgpr_workgroup_id_z 0
		.amdhsa_system_sgpr_workgroup_info 0
		.amdhsa_system_vgpr_workitem_id 0
		.amdhsa_next_free_vgpr 10
		.amdhsa_next_free_sgpr 18
		.amdhsa_accum_offset 12
		.amdhsa_reserve_vcc 1
		.amdhsa_reserve_flat_scratch 0
		.amdhsa_float_round_mode_32 0
		.amdhsa_float_round_mode_16_64 0
		.amdhsa_float_denorm_mode_32 3
		.amdhsa_float_denorm_mode_16_64 3
		.amdhsa_dx10_clamp 1
		.amdhsa_ieee_mode 1
		.amdhsa_fp16_overflow 0
		.amdhsa_tg_split 0
		.amdhsa_exception_fp_ieee_invalid_op 0
		.amdhsa_exception_fp_denorm_src 0
		.amdhsa_exception_fp_ieee_div_zero 0
		.amdhsa_exception_fp_ieee_overflow 0
		.amdhsa_exception_fp_ieee_underflow 0
		.amdhsa_exception_fp_ieee_inexact 0
		.amdhsa_exception_int_div_zero 0
	.end_amdhsa_kernel
	.section	.text._ZN4vllm15rms_norm_kernelIN3c104HalfELi1ELi2EEEvPT_PKS3_lllllS6_fii,"axG",@progbits,_ZN4vllm15rms_norm_kernelIN3c104HalfELi1ELi2EEEvPT_PKS3_lllllS6_fii,comdat
.Lfunc_end9:
	.size	_ZN4vllm15rms_norm_kernelIN3c104HalfELi1ELi2EEEvPT_PKS3_lllllS6_fii, .Lfunc_end9-_ZN4vllm15rms_norm_kernelIN3c104HalfELi1ELi2EEEvPT_PKS3_lllllS6_fii
                                        ; -- End function
	.section	.AMDGPU.csdata,"",@progbits
; Kernel info:
; codeLenInByte = 1372
; NumSgprs: 22
; NumVgprs: 10
; NumAgprs: 0
; TotalNumVgprs: 10
; ScratchSize: 0
; MemoryBound: 0
; FloatMode: 240
; IeeeMode: 1
; LDSByteSize: 68 bytes/workgroup (compile time only)
; SGPRBlocks: 2
; VGPRBlocks: 1
; NumSGPRsForWavesPerEU: 22
; NumVGPRsForWavesPerEU: 10
; AccumOffset: 12
; Occupancy: 8
; WaveLimiterHint : 0
; COMPUTE_PGM_RSRC2:SCRATCH_EN: 0
; COMPUTE_PGM_RSRC2:USER_SGPR: 6
; COMPUTE_PGM_RSRC2:TRAP_HANDLER: 0
; COMPUTE_PGM_RSRC2:TGID_X_EN: 1
; COMPUTE_PGM_RSRC2:TGID_Y_EN: 0
; COMPUTE_PGM_RSRC2:TGID_Z_EN: 0
; COMPUTE_PGM_RSRC2:TIDIG_COMP_CNT: 0
; COMPUTE_PGM_RSRC3_GFX90A:ACCUM_OFFSET: 2
; COMPUTE_PGM_RSRC3_GFX90A:TG_SPLIT: 0
	.section	.text._ZN4vllm15rms_norm_kernelIN3c108BFloat16ELi16ELi2EEEvPT_PKS3_lllllS6_fii,"axG",@progbits,_ZN4vllm15rms_norm_kernelIN3c108BFloat16ELi16ELi2EEEvPT_PKS3_lllllS6_fii,comdat
	.protected	_ZN4vllm15rms_norm_kernelIN3c108BFloat16ELi16ELi2EEEvPT_PKS3_lllllS6_fii ; -- Begin function _ZN4vllm15rms_norm_kernelIN3c108BFloat16ELi16ELi2EEEvPT_PKS3_lllllS6_fii
	.globl	_ZN4vllm15rms_norm_kernelIN3c108BFloat16ELi16ELi2EEEvPT_PKS3_lllllS6_fii
	.p2align	8
	.type	_ZN4vllm15rms_norm_kernelIN3c108BFloat16ELi16ELi2EEEvPT_PKS3_lllllS6_fii,@function
_ZN4vllm15rms_norm_kernelIN3c108BFloat16ELi16ELi2EEEvPT_PKS3_lllllS6_fii: ; @_ZN4vllm15rms_norm_kernelIN3c108BFloat16ELi16ELi2EEEvPT_PKS3_lllllS6_fii
; %bb.0:
	s_load_dwordx4 s[0:3], s[4:5], 0x8
	s_load_dword s7, s[4:5], 0x48
	s_load_dword s8, s[4:5], 0x5c
	s_waitcnt lgkmcnt(0)
	s_mul_i32 s3, s6, s3
	s_mul_hi_u32 s9, s6, s2
	s_add_i32 s3, s9, s3
	s_mul_i32 s2, s6, s2
	s_lshl_b64 s[2:3], s[2:3], 1
	s_add_u32 s33, s0, s2
	s_addc_u32 s36, s1, s3
	s_and_b32 s37, s8, 0xffff
	s_and_b32 s8, s33, 31
	s_mov_b32 s9, 0
	s_cmp_lg_u64 s[8:9], 0
	s_cselect_b64 s[8:9], -1, 0
	s_and_b32 s10, s7, 15
	s_cmp_lg_u32 s10, 0
	s_cselect_b64 s[10:11], -1, 0
	s_or_b64 s[8:9], s[8:9], s[10:11]
	s_and_b64 vcc, exec, s[8:9]
	s_cbranch_vccz .LBB10_14
; %bb.1:
	s_sub_i32 s8, 0, s33
	s_bfe_u32 s8, s8, 0x40001
	s_min_i32 s8, s8, s7
	v_cmp_gt_i32_e32 vcc, s8, v0
	v_mov_b32_e32 v1, 0
	s_and_saveexec_b64 s[10:11], vcc
	s_cbranch_execz .LBB10_5
; %bb.2:
	s_add_u32 s9, s0, s2
	v_lshlrev_b32_e32 v1, 1, v0
	s_addc_u32 s12, s1, s3
	s_mov_b32 s14, 0
	v_mov_b32_e32 v3, s12
	v_add_co_u32_e32 v2, vcc, s9, v1
	v_addc_co_u32_e32 v3, vcc, 0, v3, vcc
	s_lshl_b32 s9, s37, 1
	s_mov_b64 s[12:13], 0
	v_mov_b32_e32 v1, 0
	v_mov_b32_e32 v4, s14
	v_mov_b32_e32 v5, v0
.LBB10_3:                               ; =>This Inner Loop Header: Depth=1
	global_load_ushort v6, v[2:3], off
	v_add_co_u32_e32 v2, vcc, s9, v2
	v_add_u32_e32 v5, s37, v5
	v_addc_co_u32_e32 v3, vcc, v3, v4, vcc
	v_cmp_le_i32_e32 vcc, s8, v5
	s_or_b64 s[12:13], vcc, s[12:13]
	s_waitcnt vmcnt(0)
	v_lshlrev_b32_e32 v6, 16, v6
	v_fmac_f32_e32 v1, v6, v6
	s_andn2_b64 exec, exec, s[12:13]
	s_cbranch_execnz .LBB10_3
; %bb.4:
	s_or_b64 exec, exec, s[12:13]
.LBB10_5:
	s_or_b64 exec, exec, s[10:11]
	s_sub_i32 s14, s7, s8
	s_ashr_i32 s10, s14, 31
	s_lshr_b32 s10, s10, 28
	s_add_i32 s10, s14, s10
	s_ashr_i32 s15, s10, 4
	s_ashr_i32 s9, s8, 31
	v_cmp_gt_i32_e32 vcc, s15, v0
	s_and_saveexec_b64 s[10:11], vcc
	s_cbranch_execz .LBB10_9
; %bb.6:
	s_lshl_b64 s[12:13], s[8:9], 1
	s_add_u32 s12, s0, s12
	s_addc_u32 s13, s1, s13
	s_add_u32 s12, s12, s2
	v_lshlrev_b32_e32 v2, 5, v0
	s_addc_u32 s13, s13, s3
	s_mov_b32 s17, 0
	v_mov_b32_e32 v3, s13
	v_add_co_u32_e32 v2, vcc, s12, v2
	v_addc_co_u32_e32 v3, vcc, 0, v3, vcc
	s_lshl_b32 s16, s37, 5
	s_mov_b64 s[12:13], 0
	v_mov_b32_e32 v4, s17
	v_mov_b32_e32 v5, v0
.LBB10_7:                               ; =>This Inner Loop Header: Depth=1
	global_load_dwordx4 v[6:9], v[2:3], off
	global_load_dwordx4 v[10:13], v[2:3], off offset:16
	v_add_co_u32_e32 v2, vcc, s16, v2
	v_add_u32_e32 v5, s37, v5
	v_addc_co_u32_e32 v3, vcc, v3, v4, vcc
	v_cmp_le_i32_e32 vcc, s15, v5
	s_or_b64 s[12:13], vcc, s[12:13]
	s_waitcnt vmcnt(1)
	v_lshlrev_b32_e32 v20, 16, v6
	v_and_b32_e32 v21, 0xffff0000, v6
	v_fmac_f32_e32 v1, v20, v20
	v_lshlrev_b32_e32 v22, 16, v7
	v_fmac_f32_e32 v1, v21, v21
	v_and_b32_e32 v23, 0xffff0000, v7
	v_and_b32_e32 v7, 0xffff0000, v8
	v_lshlrev_b32_e32 v6, 16, v8
	v_fmac_f32_e32 v1, v22, v22
	v_pk_mul_f32 v[6:7], v[6:7], v[6:7]
	v_fmac_f32_e32 v1, v23, v23
	v_and_b32_e32 v15, 0xffff0000, v9
	v_lshlrev_b32_e32 v14, 16, v9
	v_add_f32_e32 v1, v1, v6
	s_waitcnt vmcnt(0)
	v_and_b32_e32 v9, 0xffff0000, v10
	v_lshlrev_b32_e32 v8, 16, v10
	v_and_b32_e32 v17, 0xffff0000, v11
	v_lshlrev_b32_e32 v16, 16, v11
	;; [unrolled: 2-line block ×4, first 2 shown]
	v_pk_mul_f32 v[12:13], v[14:15], v[14:15]
	v_add_f32_e32 v1, v1, v7
	v_add_f32_e32 v1, v1, v12
	v_pk_mul_f32 v[8:9], v[8:9], v[8:9]
	v_add_f32_e32 v1, v1, v13
	v_add_f32_e32 v1, v1, v8
	;; [unrolled: 3-line block ×5, first 2 shown]
	v_add_f32_e32 v1, v1, v17
	s_andn2_b64 exec, exec, s[12:13]
	s_cbranch_execnz .LBB10_7
; %bb.8:
	s_or_b64 exec, exec, s[12:13]
.LBB10_9:
	s_or_b64 exec, exec, s[10:11]
	v_lshl_add_u32 v2, s15, 4, v0
	v_cmp_gt_i32_e32 vcc, s14, v2
	s_and_saveexec_b64 s[10:11], vcc
	s_cbranch_execz .LBB10_13
; %bb.10:
	s_lshl_b64 s[8:9], s[8:9], 1
	s_add_u32 s8, s2, s8
	s_addc_u32 s9, s3, s9
	v_ashrrev_i32_e32 v3, 31, v2
	s_add_u32 s8, s0, s8
	v_lshlrev_b64 v[4:5], 1, v[2:3]
	s_addc_u32 s9, s1, s9
	v_mov_b32_e32 v3, s9
	v_add_co_u32_e32 v4, vcc, s8, v4
	s_mov_b32 s13, 0
	v_addc_co_u32_e32 v5, vcc, v3, v5, vcc
	s_lshl_b32 s12, s37, 1
	s_mov_b64 s[8:9], 0
	v_mov_b32_e32 v3, s13
.LBB10_11:                              ; =>This Inner Loop Header: Depth=1
	global_load_ushort v6, v[4:5], off
	v_add_co_u32_e32 v4, vcc, s12, v4
	v_add_u32_e32 v2, s37, v2
	v_addc_co_u32_e32 v5, vcc, v5, v3, vcc
	v_cmp_le_i32_e32 vcc, s14, v2
	s_or_b64 s[8:9], vcc, s[8:9]
	s_waitcnt vmcnt(0)
	v_lshlrev_b32_e32 v6, 16, v6
	v_fmac_f32_e32 v1, v6, v6
	s_andn2_b64 exec, exec, s[8:9]
	s_cbranch_execnz .LBB10_11
; %bb.12:
	s_or_b64 exec, exec, s[8:9]
.LBB10_13:
	s_or_b64 exec, exec, s[10:11]
	s_branch .LBB10_20
.LBB10_14:
                                        ; implicit-def: $vgpr1
	s_cbranch_execz .LBB10_20
; %bb.15:
	s_ashr_i32 s10, s7, 4
	v_cmp_gt_i32_e32 vcc, s10, v0
	v_mov_b32_e32 v1, 0
	s_and_saveexec_b64 s[8:9], vcc
	s_cbranch_execz .LBB10_19
; %bb.16:
	s_add_u32 s0, s0, s2
	v_lshlrev_b32_e32 v1, 5, v0
	s_addc_u32 s1, s1, s3
	s_mov_b32 s11, 0
	v_mov_b32_e32 v3, s1
	v_add_co_u32_e32 v2, vcc, s0, v1
	v_addc_co_u32_e32 v3, vcc, 0, v3, vcc
	s_lshl_b32 s2, s37, 5
	s_mov_b64 s[0:1], 0
	v_mov_b32_e32 v1, 0
	v_mov_b32_e32 v4, s11
	;; [unrolled: 1-line block ×3, first 2 shown]
.LBB10_17:                              ; =>This Inner Loop Header: Depth=1
	global_load_dwordx4 v[6:9], v[2:3], off
	global_load_dwordx4 v[10:13], v[2:3], off offset:16
	v_add_co_u32_e32 v2, vcc, s2, v2
	v_add_u32_e32 v5, s37, v5
	v_addc_co_u32_e32 v3, vcc, v3, v4, vcc
	v_cmp_le_i32_e32 vcc, s10, v5
	s_or_b64 s[0:1], vcc, s[0:1]
	s_waitcnt vmcnt(1)
	v_lshlrev_b32_e32 v20, 16, v6
	v_and_b32_e32 v21, 0xffff0000, v6
	v_fmac_f32_e32 v1, v20, v20
	v_lshlrev_b32_e32 v22, 16, v7
	v_fmac_f32_e32 v1, v21, v21
	v_and_b32_e32 v23, 0xffff0000, v7
	v_and_b32_e32 v7, 0xffff0000, v8
	v_lshlrev_b32_e32 v6, 16, v8
	v_fmac_f32_e32 v1, v22, v22
	v_pk_mul_f32 v[6:7], v[6:7], v[6:7]
	v_fmac_f32_e32 v1, v23, v23
	v_and_b32_e32 v15, 0xffff0000, v9
	v_lshlrev_b32_e32 v14, 16, v9
	v_add_f32_e32 v1, v6, v1
	s_waitcnt vmcnt(0)
	v_and_b32_e32 v9, 0xffff0000, v10
	v_lshlrev_b32_e32 v8, 16, v10
	v_and_b32_e32 v17, 0xffff0000, v11
	v_lshlrev_b32_e32 v16, 16, v11
	v_and_b32_e32 v11, 0xffff0000, v12
	v_lshlrev_b32_e32 v10, 16, v12
	v_and_b32_e32 v19, 0xffff0000, v13
	v_lshlrev_b32_e32 v18, 16, v13
	v_pk_mul_f32 v[12:13], v[14:15], v[14:15]
	v_add_f32_e32 v1, v7, v1
	v_add_f32_e32 v1, v12, v1
	v_pk_mul_f32 v[8:9], v[8:9], v[8:9]
	v_add_f32_e32 v1, v13, v1
	v_add_f32_e32 v1, v8, v1
	;; [unrolled: 3-line block ×5, first 2 shown]
	v_add_f32_e32 v1, v17, v1
	s_andn2_b64 exec, exec, s[0:1]
	s_cbranch_execnz .LBB10_17
; %bb.18:
	s_or_b64 exec, exec, s[0:1]
.LBB10_19:
	s_or_b64 exec, exec, s[8:9]
.LBB10_20:
	v_mbcnt_lo_u32_b32 v2, -1, 0
	v_mbcnt_hi_u32_b32 v2, -1, v2
	v_and_b32_e32 v3, 63, v2
	v_cmp_ne_u32_e32 vcc, 63, v3
	v_addc_co_u32_e32 v4, vcc, 0, v2, vcc
	v_lshlrev_b32_e32 v4, 2, v4
	ds_bpermute_b32 v4, v4, v1
	v_and_b32_e32 v5, 0x3c0, v0
	v_sub_u32_e64 v5, s37, v5 clamp
	v_add_u32_e32 v6, 1, v2
	v_cmp_lt_u32_e32 vcc, v6, v5
	s_waitcnt lgkmcnt(0)
	v_add_f32_e32 v4, v1, v4
	v_cndmask_b32_e32 v1, v1, v4, vcc
	v_cmp_gt_u32_e32 vcc, 62, v3
	v_cndmask_b32_e64 v4, 0, 1, vcc
	v_lshlrev_b32_e32 v4, 1, v4
	v_add_lshl_u32 v4, v4, v2, 2
	ds_bpermute_b32 v4, v4, v1
	v_add_u32_e32 v6, 2, v2
	v_cmp_lt_u32_e32 vcc, v6, v5
	v_add_u32_e32 v6, 4, v2
	s_waitcnt lgkmcnt(0)
	v_add_f32_e32 v4, v1, v4
	v_cndmask_b32_e32 v1, v1, v4, vcc
	v_cmp_gt_u32_e32 vcc, 60, v3
	v_cndmask_b32_e64 v4, 0, 1, vcc
	v_lshlrev_b32_e32 v4, 2, v4
	v_add_lshl_u32 v4, v4, v2, 2
	ds_bpermute_b32 v4, v4, v1
	v_cmp_lt_u32_e32 vcc, v6, v5
	v_add_u32_e32 v6, 8, v2
	s_waitcnt lgkmcnt(0)
	v_add_f32_e32 v4, v1, v4
	v_cndmask_b32_e32 v1, v1, v4, vcc
	v_cmp_gt_u32_e32 vcc, 56, v3
	v_cndmask_b32_e64 v4, 0, 1, vcc
	v_lshlrev_b32_e32 v4, 3, v4
	v_add_lshl_u32 v4, v4, v2, 2
	ds_bpermute_b32 v4, v4, v1
	;; [unrolled: 10-line block ×3, first 2 shown]
	v_cmp_lt_u32_e32 vcc, v6, v5
	s_waitcnt lgkmcnt(0)
	v_add_f32_e32 v4, v1, v4
	v_cndmask_b32_e32 v1, v1, v4, vcc
	v_cmp_gt_u32_e32 vcc, 32, v3
	v_cndmask_b32_e64 v3, 0, 1, vcc
	v_lshlrev_b32_e32 v3, 5, v3
	v_add_lshl_u32 v3, v3, v2, 2
	ds_bpermute_b32 v3, v3, v1
	v_add_u32_e32 v4, 32, v2
	v_cmp_lt_u32_e32 vcc, v4, v5
	s_waitcnt lgkmcnt(0)
	v_add_f32_e32 v3, v1, v3
	v_cndmask_b32_e32 v1, v1, v3, vcc
	v_cmp_eq_u32_e32 vcc, 0, v2
	s_and_saveexec_b64 s[0:1], vcc
	s_cbranch_execz .LBB10_22
; %bb.21:
	v_lshrrev_b32_e32 v3, 4, v0
	v_and_b32_e32 v3, 60, v3
	ds_write_b32 v3, v1
.LBB10_22:
	s_or_b64 exec, exec, s[0:1]
	v_cmp_gt_u32_e32 vcc, 16, v0
	s_waitcnt lgkmcnt(0)
	s_barrier
	s_and_saveexec_b64 s[2:3], vcc
	s_cbranch_execz .LBB10_24
; %bb.23:
	v_lshlrev_b32_e32 v1, 2, v2
	ds_read_b32 v1, v1
	v_and_b32_e32 v3, 15, v2
	v_cmp_ne_u32_e32 vcc, 15, v3
	v_addc_co_u32_e32 v4, vcc, 0, v2, vcc
	v_lshlrev_b32_e32 v4, 2, v4
	s_waitcnt lgkmcnt(0)
	ds_bpermute_b32 v4, v4, v1
	s_add_i32 s0, s37, 63
	s_lshr_b32 s8, s0, 6
	v_add_u32_e32 v5, 1, v3
	v_cmp_gt_u32_e64 s[0:1], 14, v3
	v_cmp_gt_u32_e32 vcc, s8, v5
	v_cndmask_b32_e64 v5, 0, 1, s[0:1]
	s_waitcnt lgkmcnt(0)
	v_add_f32_e32 v4, v1, v4
	v_lshlrev_b32_e32 v5, 1, v5
	v_cndmask_b32_e32 v4, v1, v4, vcc
	v_add_lshl_u32 v5, v5, v2, 2
	ds_bpermute_b32 v5, v5, v4
	v_add_u32_e32 v6, 2, v3
	v_cmp_gt_u32_e64 s[0:1], s8, v6
	v_add_u32_e32 v6, 4, v3
	s_waitcnt lgkmcnt(0)
	v_add_f32_e32 v5, v4, v5
	v_cndmask_b32_e64 v4, v4, v5, s[0:1]
	v_cmp_gt_u32_e64 s[0:1], 12, v3
	v_cndmask_b32_e64 v5, 0, 1, s[0:1]
	v_lshlrev_b32_e32 v5, 2, v5
	v_add_lshl_u32 v5, v5, v2, 2
	ds_bpermute_b32 v5, v5, v4
	v_cmp_gt_u32_e64 s[0:1], s8, v6
	s_waitcnt lgkmcnt(0)
	v_add_f32_e32 v5, v4, v5
	v_cndmask_b32_e64 v4, v4, v5, s[0:1]
	v_cmp_gt_u32_e64 s[0:1], 8, v3
	v_cndmask_b32_e64 v5, 0, 1, s[0:1]
	v_lshlrev_b32_e32 v5, 3, v5
	v_add_lshl_u32 v2, v5, v2, 2
	ds_bpermute_b32 v2, v2, v4
	v_add_u32_e32 v3, 8, v3
	v_cmp_gt_u32_e64 s[0:1], s8, v3
	s_waitcnt lgkmcnt(0)
	v_add_f32_e32 v2, v4, v2
	v_cndmask_b32_e64 v2, v4, v2, s[0:1]
	v_cndmask_b32_e32 v1, v1, v2, vcc
.LBB10_24:
	s_or_b64 exec, exec, s[2:3]
	v_cmp_eq_u32_e32 vcc, 0, v0
	s_and_saveexec_b64 s[0:1], vcc
	s_cbranch_execz .LBB10_26
; %bb.25:
	v_cvt_f32_i32_e32 v2, s7
	s_load_dword s8, s[4:5], 0x40
	v_div_scale_f32 v3, s[2:3], v2, v2, v1
	v_rcp_f32_e32 v4, v3
	v_div_scale_f32 v5, vcc, v1, v2, v1
	s_mov_b32 s2, 0x800000
	v_fma_f32 v6, -v3, v4, 1.0
	v_fmac_f32_e32 v4, v6, v4
	v_mul_f32_e32 v6, v5, v4
	v_fma_f32 v7, -v3, v6, v5
	v_fmac_f32_e32 v6, v7, v4
	v_fma_f32 v3, -v3, v6, v5
	v_div_fmas_f32 v3, v3, v4, v6
	v_div_fixup_f32 v1, v3, v2, v1
	s_waitcnt lgkmcnt(0)
	v_add_f32_e32 v1, s8, v1
	v_mul_f32_e32 v2, 0x4b800000, v1
	v_cmp_gt_f32_e32 vcc, s2, v1
	v_cndmask_b32_e32 v1, v1, v2, vcc
	v_rsq_f32_e32 v1, v1
	v_mul_f32_e32 v2, 0x45800000, v1
	v_cndmask_b32_e32 v1, v1, v2, vcc
	v_mov_b32_e32 v2, 0
	ds_write_b32 v2, v1 offset:64
.LBB10_26:
	s_or_b64 exec, exec, s[0:1]
	s_ashr_i32 s0, s7, 31
	s_lshr_b32 s0, s0, 28
	s_add_i32 s0, s7, s0
	s_ashr_i32 s38, s0, 4
	v_cmp_gt_i32_e32 vcc, s38, v0
	s_waitcnt lgkmcnt(0)
	s_barrier
	s_and_saveexec_b64 s[0:1], vcc
	s_cbranch_execz .LBB10_34
; %bb.27:
	v_cvt_f32_u32_e32 v1, s37
	s_load_dwordx2 s[0:1], s[4:5], 0x0
	s_load_dwordx2 s[30:31], s[4:5], 0x38
	s_mul_i32 s2, s6, s7
	s_mov_b32 s3, 0
	v_rcp_iflag_f32_e32 v1, v1
	s_lshl_b64 s[2:3], s[2:3], 1
	v_add_u32_e32 v2, s37, v0
	s_waitcnt lgkmcnt(0)
	s_add_u32 s39, s0, s2
	v_mul_f32_e32 v1, 0x4f7ffffe, v1
	v_cvt_u32_f32_e32 v1, v1
	v_mov_b32_e32 v4, s37
	v_cmp_gt_i32_e32 vcc, s38, v2
	s_addc_u32 s40, s1, s3
	v_max_i32_e32 v3, s38, v2
	v_addc_co_u32_e64 v2, s[0:1], v0, v4, vcc
	s_sub_i32 s0, 0, s37
	v_sub_u32_e32 v2, v3, v2
	v_mul_lo_u32 v3, s0, v1
	v_mul_hi_u32 v3, v1, v3
	v_add_u32_e32 v1, v1, v3
	v_mul_hi_u32 v1, v2, v1
	v_mul_lo_u32 v3, v1, s37
	v_sub_u32_e32 v2, v2, v3
	v_add_u32_e32 v3, 1, v1
	v_cmp_le_u32_e64 s[0:1], s37, v2
	v_cndmask_b32_e64 v1, v1, v3, s[0:1]
	v_subrev_u32_e32 v3, s37, v2
	v_mov_b32_e32 v37, 0
	v_cndmask_b32_e64 v2, v2, v3, s[0:1]
	ds_read_b32 v34, v37 offset:64
	v_add_u32_e32 v3, 1, v1
	v_cmp_le_u32_e64 s[0:1], s37, v2
	v_cndmask_b32_e64 v1, v1, v3, s[0:1]
	v_addc_co_u32_e32 v44, vcc, 1, v1, vcc
	s_cmp_eq_u32 s37, 1
	v_cmp_lt_u32_e32 vcc, 1, v44
	s_cselect_b64 s[0:1], -1, 0
	s_and_b64 s[4:5], vcc, s[0:1]
	s_mov_b64 s[2:3], -1
	s_and_saveexec_b64 s[0:1], s[4:5]
	s_cbranch_execz .LBB10_31
; %bb.28:
	v_and_b32_e32 v45, -2, v44
	v_add_u32_e32 v1, 1, v0
	s_waitcnt lgkmcnt(0)
	v_mov_b32_e32 v35, v34
	s_mov_b64 s[2:3], 0
	v_mov_b32_e32 v46, s36
	v_mov_b32_e32 v47, s31
	s_movk_i32 s4, 0x7fff
	v_mov_b32_e32 v48, 0x7fc00000
	v_mov_b32_e32 v49, 0x7fc0
	;; [unrolled: 1-line block ×3, first 2 shown]
	s_mov_b32 s5, 0x5040100
	v_mov_b32_e32 v51, v45
	v_pk_mov_b32 v[38:39], v[0:1], v[0:1] op_sel:[0,1]
.LBB10_29:                              ; =>This Inner Loop Header: Depth=1
	v_mov_b32_e32 v36, v38
	v_lshlrev_b64 v[40:41], 5, v[36:37]
	v_add_co_u32_e32 v2, vcc, s33, v40
	v_mov_b32_e32 v36, v39
	v_addc_co_u32_e32 v3, vcc, v46, v41, vcc
	v_lshlrev_b64 v[42:43], 5, v[36:37]
	v_add_co_u32_e32 v4, vcc, s33, v42
	v_addc_co_u32_e32 v5, vcc, v46, v43, vcc
	global_load_dwordx4 v[22:25], v[2:3], off
	global_load_dwordx4 v[30:33], v[4:5], off
	global_load_dwordx4 v[6:9], v[2:3], off offset:16
	global_load_dwordx4 v[14:17], v[4:5], off offset:16
	v_add_co_u32_e32 v52, vcc, s30, v40
	v_addc_co_u32_e32 v53, vcc, v47, v41, vcc
	v_add_co_u32_e32 v54, vcc, s30, v42
	v_addc_co_u32_e32 v55, vcc, v47, v43, vcc
	global_load_dwordx4 v[18:21], v[52:53], off
	global_load_dwordx4 v[26:29], v[54:55], off
	global_load_dwordx4 v[2:5], v[52:53], off offset:16
	global_load_dwordx4 v[10:13], v[54:55], off offset:16
	v_add_u32_e32 v51, -2, v51
	v_add_u32_e32 v39, 2, v39
	v_add_u32_e32 v38, 2, v38
	s_waitcnt vmcnt(7)
	v_lshlrev_b32_e32 v52, 16, v22
	s_waitcnt vmcnt(6)
	v_lshlrev_b32_e32 v53, 16, v30
	v_pk_mul_f32 v[52:53], v[34:35], v[52:53]
	v_bfe_u32 v36, v53, 16, 1
	v_bfe_u32 v1, v52, 16, 1
	v_add3_u32 v36, v53, v36, s4
	v_add3_u32 v1, v52, v1, s4
	v_and_b32_e32 v36, 0xffff0000, v36
	v_cmp_o_f32_e32 vcc, v53, v53
	v_and_b32_e32 v1, 0xffff0000, v1
	v_cndmask_b32_e32 v53, v48, v36, vcc
	v_cmp_o_f32_e32 vcc, v52, v52
	v_cndmask_b32_e32 v52, v48, v1, vcc
	s_waitcnt vmcnt(2)
	v_lshlrev_b32_e32 v55, 16, v26
	v_lshlrev_b32_e32 v54, 16, v18
	v_pk_mul_f32 v[52:53], v[52:53], v[54:55]
	v_bfe_u32 v1, v53, 16, 1
	v_add3_u32 v1, v53, v1, s4
	v_bfe_u32 v36, v52, 16, 1
	v_lshrrev_b32_e32 v1, 16, v1
	v_cmp_o_f32_e32 vcc, v53, v53
	v_add3_u32 v36, v52, v36, s4
	v_cndmask_b32_e32 v1, v49, v1, vcc
	v_cmp_o_f32_e32 vcc, v52, v52
	v_and_b32_e32 v53, 0xffff0000, v30
	v_and_b32_e32 v52, 0xffff0000, v22
	v_pk_mul_f32 v[52:53], v[34:35], v[52:53]
	v_bfe_u32 v30, v53, 16, 1
	v_lshrrev_b32_e32 v36, 16, v36
	v_bfe_u32 v22, v52, 16, 1
	v_add3_u32 v30, v53, v30, s4
	v_cndmask_b32_e32 v36, v49, v36, vcc
	v_add3_u32 v22, v52, v22, s4
	v_and_b32_e32 v30, 0xffff0000, v30
	v_cmp_o_f32_e32 vcc, v53, v53
	v_and_b32_e32 v22, 0xffff0000, v22
	v_cndmask_b32_e32 v53, v48, v30, vcc
	v_cmp_o_f32_e32 vcc, v52, v52
	v_cndmask_b32_e32 v52, v48, v22, vcc
	v_and_b32_e32 v55, 0xffff0000, v26
	v_and_b32_e32 v54, 0xffff0000, v18
	v_pk_mul_f32 v[52:53], v[52:53], v[54:55]
	v_bfe_u32 v18, v53, 16, 1
	v_add3_u32 v18, v53, v18, s4
	v_bfe_u32 v22, v52, 16, 1
	v_lshrrev_b32_e32 v18, 16, v18
	v_cmp_o_f32_e32 vcc, v53, v53
	v_add3_u32 v22, v52, v22, s4
	v_cndmask_b32_e32 v18, v49, v18, vcc
	v_cmp_o_f32_e32 vcc, v52, v52
	v_lshlrev_b32_e32 v53, 16, v31
	v_lshlrev_b32_e32 v52, 16, v23
	v_pk_mul_f32 v[52:53], v[34:35], v[52:53]
	v_bfe_u32 v30, v53, 16, 1
	v_lshrrev_b32_e32 v22, 16, v22
	v_bfe_u32 v26, v52, 16, 1
	v_add3_u32 v30, v53, v30, s4
	v_cndmask_b32_e32 v22, v49, v22, vcc
	v_add3_u32 v26, v52, v26, s4
	v_and_b32_e32 v30, 0xffff0000, v30
	v_cmp_o_f32_e32 vcc, v53, v53
	v_and_b32_e32 v26, 0xffff0000, v26
	v_cndmask_b32_e32 v53, v48, v30, vcc
	v_cmp_o_f32_e32 vcc, v52, v52
	v_cndmask_b32_e32 v52, v48, v26, vcc
	v_lshlrev_b32_e32 v55, 16, v27
	v_lshlrev_b32_e32 v54, 16, v19
	v_pk_mul_f32 v[52:53], v[52:53], v[54:55]
	v_bfe_u32 v26, v53, 16, 1
	v_add3_u32 v26, v53, v26, s4
	v_bfe_u32 v30, v52, 16, 1
	v_lshrrev_b32_e32 v26, 16, v26
	v_cmp_o_f32_e32 vcc, v53, v53
	v_add3_u32 v30, v52, v30, s4
	v_cndmask_b32_e32 v26, v49, v26, vcc
	v_cmp_o_f32_e32 vcc, v52, v52
	v_and_b32_e32 v53, 0xffff0000, v31
	v_and_b32_e32 v52, 0xffff0000, v23
	v_pk_mul_f32 v[52:53], v[34:35], v[52:53]
	v_bfe_u32 v31, v53, 16, 1
	v_lshrrev_b32_e32 v30, 16, v30
	v_bfe_u32 v23, v52, 16, 1
	v_add3_u32 v31, v53, v31, s4
	v_cndmask_b32_e32 v30, v49, v30, vcc
	v_add3_u32 v23, v52, v23, s4
	v_and_b32_e32 v31, 0xffff0000, v31
	v_cmp_o_f32_e32 vcc, v53, v53
	v_and_b32_e32 v23, 0xffff0000, v23
	v_cndmask_b32_e32 v53, v48, v31, vcc
	v_cmp_o_f32_e32 vcc, v52, v52
	v_cndmask_b32_e32 v52, v48, v23, vcc
	v_and_b32_e32 v55, 0xffff0000, v27
	v_and_b32_e32 v54, 0xffff0000, v19
	v_pk_mul_f32 v[52:53], v[52:53], v[54:55]
	v_bfe_u32 v19, v53, 16, 1
	v_add3_u32 v19, v53, v19, s4
	v_bfe_u32 v23, v52, 16, 1
	v_lshrrev_b32_e32 v19, 16, v19
	v_cmp_o_f32_e32 vcc, v53, v53
	v_add3_u32 v23, v52, v23, s4
	v_cndmask_b32_e32 v19, v49, v19, vcc
	v_cmp_o_f32_e32 vcc, v52, v52
	v_lshlrev_b32_e32 v53, 16, v32
	v_lshlrev_b32_e32 v52, 16, v24
	v_pk_mul_f32 v[52:53], v[34:35], v[52:53]
	v_bfe_u32 v31, v53, 16, 1
	v_lshrrev_b32_e32 v23, 16, v23
	v_bfe_u32 v27, v52, 16, 1
	v_add3_u32 v31, v53, v31, s4
	v_cndmask_b32_e32 v23, v49, v23, vcc
	v_add3_u32 v27, v52, v27, s4
	v_and_b32_e32 v31, 0xffff0000, v31
	v_cmp_o_f32_e32 vcc, v53, v53
	v_and_b32_e32 v27, 0xffff0000, v27
	v_cndmask_b32_e32 v53, v48, v31, vcc
	v_cmp_o_f32_e32 vcc, v52, v52
	v_cndmask_b32_e32 v52, v48, v27, vcc
	v_lshlrev_b32_e32 v55, 16, v28
	v_lshlrev_b32_e32 v54, 16, v20
	v_pk_mul_f32 v[52:53], v[52:53], v[54:55]
	v_bfe_u32 v27, v53, 16, 1
	v_add3_u32 v27, v53, v27, s4
	v_bfe_u32 v31, v52, 16, 1
	v_lshrrev_b32_e32 v27, 16, v27
	v_cmp_o_f32_e32 vcc, v53, v53
	v_add3_u32 v31, v52, v31, s4
	v_cndmask_b32_e32 v27, v49, v27, vcc
	v_cmp_o_f32_e32 vcc, v52, v52
	v_and_b32_e32 v53, 0xffff0000, v32
	v_and_b32_e32 v52, 0xffff0000, v24
	v_pk_mul_f32 v[52:53], v[34:35], v[52:53]
	v_bfe_u32 v32, v53, 16, 1
	v_lshrrev_b32_e32 v31, 16, v31
	v_bfe_u32 v24, v52, 16, 1
	v_add3_u32 v32, v53, v32, s4
	v_cndmask_b32_e32 v31, v49, v31, vcc
	v_add3_u32 v24, v52, v24, s4
	v_and_b32_e32 v32, 0xffff0000, v32
	v_cmp_o_f32_e32 vcc, v53, v53
	v_and_b32_e32 v24, 0xffff0000, v24
	v_cndmask_b32_e32 v53, v48, v32, vcc
	v_cmp_o_f32_e32 vcc, v52, v52
	v_cndmask_b32_e32 v52, v48, v24, vcc
	v_and_b32_e32 v55, 0xffff0000, v28
	v_and_b32_e32 v54, 0xffff0000, v20
	v_pk_mul_f32 v[52:53], v[52:53], v[54:55]
	v_bfe_u32 v20, v53, 16, 1
	v_add3_u32 v20, v53, v20, s4
	v_bfe_u32 v24, v52, 16, 1
	v_lshrrev_b32_e32 v20, 16, v20
	v_cmp_o_f32_e32 vcc, v53, v53
	v_add3_u32 v24, v52, v24, s4
	v_cndmask_b32_e32 v20, v49, v20, vcc
	v_cmp_o_f32_e32 vcc, v52, v52
	v_lshlrev_b32_e32 v53, 16, v33
	v_lshlrev_b32_e32 v52, 16, v25
	v_pk_mul_f32 v[52:53], v[34:35], v[52:53]
	v_bfe_u32 v32, v53, 16, 1
	v_lshrrev_b32_e32 v24, 16, v24
	v_bfe_u32 v28, v52, 16, 1
	v_add3_u32 v32, v53, v32, s4
	v_cndmask_b32_e32 v24, v49, v24, vcc
	v_add3_u32 v28, v52, v28, s4
	v_and_b32_e32 v32, 0xffff0000, v32
	v_cmp_o_f32_e32 vcc, v53, v53
	v_and_b32_e32 v28, 0xffff0000, v28
	v_cndmask_b32_e32 v53, v48, v32, vcc
	v_cmp_o_f32_e32 vcc, v52, v52
	v_cndmask_b32_e32 v52, v48, v28, vcc
	v_lshlrev_b32_e32 v55, 16, v29
	v_lshlrev_b32_e32 v54, 16, v21
	v_pk_mul_f32 v[52:53], v[52:53], v[54:55]
	v_bfe_u32 v28, v53, 16, 1
	v_add3_u32 v28, v53, v28, s4
	v_bfe_u32 v32, v52, 16, 1
	v_lshrrev_b32_e32 v28, 16, v28
	v_cmp_o_f32_e32 vcc, v53, v53
	v_add3_u32 v32, v52, v32, s4
	v_cndmask_b32_e32 v28, v49, v28, vcc
	v_cmp_o_f32_e32 vcc, v52, v52
	v_and_b32_e32 v53, 0xffff0000, v33
	v_and_b32_e32 v52, 0xffff0000, v25
	v_pk_mul_f32 v[52:53], v[34:35], v[52:53]
	v_bfe_u32 v33, v53, 16, 1
	v_lshrrev_b32_e32 v32, 16, v32
	v_bfe_u32 v25, v52, 16, 1
	v_add3_u32 v33, v53, v33, s4
	v_cndmask_b32_e32 v32, v49, v32, vcc
	v_add3_u32 v25, v52, v25, s4
	v_and_b32_e32 v33, 0xffff0000, v33
	v_cmp_o_f32_e32 vcc, v53, v53
	v_and_b32_e32 v25, 0xffff0000, v25
	v_cndmask_b32_e32 v53, v48, v33, vcc
	v_cmp_o_f32_e32 vcc, v52, v52
	v_cndmask_b32_e32 v52, v48, v25, vcc
	v_and_b32_e32 v55, 0xffff0000, v29
	v_and_b32_e32 v54, 0xffff0000, v21
	v_pk_mul_f32 v[52:53], v[52:53], v[54:55]
	v_bfe_u32 v21, v53, 16, 1
	v_add3_u32 v21, v53, v21, s4
	v_bfe_u32 v25, v52, 16, 1
	v_lshrrev_b32_e32 v21, 16, v21
	v_cmp_o_f32_e32 vcc, v53, v53
	v_add3_u32 v25, v52, v25, s4
	v_cndmask_b32_e32 v21, v49, v21, vcc
	v_cmp_o_f32_e32 vcc, v52, v52
	v_lshlrev_b32_e32 v53, 16, v14
	v_lshlrev_b32_e32 v52, 16, v6
	v_pk_mul_f32 v[52:53], v[34:35], v[52:53]
	v_bfe_u32 v33, v53, 16, 1
	v_lshrrev_b32_e32 v25, 16, v25
	v_bfe_u32 v29, v52, 16, 1
	v_add3_u32 v33, v53, v33, s4
	v_cndmask_b32_e32 v25, v49, v25, vcc
	v_add3_u32 v29, v52, v29, s4
	v_and_b32_e32 v33, 0xffff0000, v33
	v_cmp_o_f32_e32 vcc, v53, v53
	v_and_b32_e32 v29, 0xffff0000, v29
	v_cndmask_b32_e32 v53, v48, v33, vcc
	v_cmp_o_f32_e32 vcc, v52, v52
	v_cndmask_b32_e32 v52, v48, v29, vcc
	s_waitcnt vmcnt(0)
	v_lshlrev_b32_e32 v55, 16, v10
	v_lshlrev_b32_e32 v54, 16, v2
	v_pk_mul_f32 v[52:53], v[52:53], v[54:55]
	v_bfe_u32 v29, v53, 16, 1
	v_add3_u32 v29, v53, v29, s4
	v_bfe_u32 v33, v52, 16, 1
	v_lshrrev_b32_e32 v29, 16, v29
	v_cmp_o_f32_e32 vcc, v53, v53
	v_add3_u32 v33, v52, v33, s4
	v_cndmask_b32_e32 v29, v49, v29, vcc
	v_cmp_o_f32_e32 vcc, v52, v52
	v_and_b32_e32 v53, 0xffff0000, v14
	v_and_b32_e32 v52, 0xffff0000, v6
	v_pk_mul_f32 v[52:53], v[34:35], v[52:53]
	v_bfe_u32 v14, v53, 16, 1
	v_lshrrev_b32_e32 v33, 16, v33
	v_bfe_u32 v6, v52, 16, 1
	v_add3_u32 v14, v53, v14, s4
	v_cndmask_b32_e32 v33, v49, v33, vcc
	v_add3_u32 v6, v52, v6, s4
	v_and_b32_e32 v14, 0xffff0000, v14
	v_cmp_o_f32_e32 vcc, v53, v53
	v_and_b32_e32 v6, 0xffff0000, v6
	v_cndmask_b32_e32 v53, v48, v14, vcc
	v_cmp_o_f32_e32 vcc, v52, v52
	v_cndmask_b32_e32 v52, v48, v6, vcc
	v_and_b32_e32 v55, 0xffff0000, v10
	v_and_b32_e32 v54, 0xffff0000, v2
	v_pk_mul_f32 v[52:53], v[52:53], v[54:55]
	v_bfe_u32 v2, v53, 16, 1
	v_add3_u32 v2, v53, v2, s4
	v_bfe_u32 v6, v52, 16, 1
	v_lshrrev_b32_e32 v2, 16, v2
	v_cmp_o_f32_e32 vcc, v53, v53
	v_add3_u32 v6, v52, v6, s4
	v_cndmask_b32_e32 v2, v49, v2, vcc
	v_cmp_o_f32_e32 vcc, v52, v52
	v_lshlrev_b32_e32 v53, 16, v15
	v_lshlrev_b32_e32 v52, 16, v7
	v_pk_mul_f32 v[52:53], v[34:35], v[52:53]
	v_bfe_u32 v14, v53, 16, 1
	v_lshrrev_b32_e32 v6, 16, v6
	v_bfe_u32 v10, v52, 16, 1
	v_add3_u32 v14, v53, v14, s4
	v_cndmask_b32_e32 v6, v49, v6, vcc
	v_add3_u32 v10, v52, v10, s4
	v_and_b32_e32 v14, 0xffff0000, v14
	v_cmp_o_f32_e32 vcc, v53, v53
	v_and_b32_e32 v10, 0xffff0000, v10
	v_cndmask_b32_e32 v53, v48, v14, vcc
	v_cmp_o_f32_e32 vcc, v52, v52
	v_cndmask_b32_e32 v52, v48, v10, vcc
	v_lshlrev_b32_e32 v55, 16, v11
	v_lshlrev_b32_e32 v54, 16, v3
	v_pk_mul_f32 v[52:53], v[52:53], v[54:55]
	v_bfe_u32 v10, v53, 16, 1
	v_add3_u32 v10, v53, v10, s4
	v_bfe_u32 v14, v52, 16, 1
	v_lshrrev_b32_e32 v10, 16, v10
	v_cmp_o_f32_e32 vcc, v53, v53
	v_add3_u32 v14, v52, v14, s4
	v_cndmask_b32_e32 v10, v49, v10, vcc
	v_cmp_o_f32_e32 vcc, v52, v52
	v_and_b32_e32 v53, 0xffff0000, v15
	v_and_b32_e32 v52, 0xffff0000, v7
	v_pk_mul_f32 v[52:53], v[34:35], v[52:53]
	v_bfe_u32 v15, v53, 16, 1
	v_lshrrev_b32_e32 v14, 16, v14
	v_bfe_u32 v7, v52, 16, 1
	v_add3_u32 v15, v53, v15, s4
	v_cndmask_b32_e32 v14, v49, v14, vcc
	v_add3_u32 v7, v52, v7, s4
	v_and_b32_e32 v15, 0xffff0000, v15
	v_cmp_o_f32_e32 vcc, v53, v53
	v_and_b32_e32 v7, 0xffff0000, v7
	v_cndmask_b32_e32 v53, v48, v15, vcc
	v_cmp_o_f32_e32 vcc, v52, v52
	v_cndmask_b32_e32 v52, v48, v7, vcc
	v_and_b32_e32 v55, 0xffff0000, v11
	v_and_b32_e32 v54, 0xffff0000, v3
	v_pk_mul_f32 v[52:53], v[52:53], v[54:55]
	v_bfe_u32 v3, v53, 16, 1
	v_add3_u32 v3, v53, v3, s4
	v_bfe_u32 v7, v52, 16, 1
	v_lshrrev_b32_e32 v3, 16, v3
	v_cmp_o_f32_e32 vcc, v53, v53
	v_add3_u32 v7, v52, v7, s4
	v_cndmask_b32_e32 v3, v49, v3, vcc
	v_cmp_o_f32_e32 vcc, v52, v52
	v_lshlrev_b32_e32 v53, 16, v16
	v_lshlrev_b32_e32 v52, 16, v8
	v_pk_mul_f32 v[52:53], v[34:35], v[52:53]
	v_bfe_u32 v15, v53, 16, 1
	v_lshrrev_b32_e32 v7, 16, v7
	v_bfe_u32 v11, v52, 16, 1
	v_add3_u32 v15, v53, v15, s4
	v_cndmask_b32_e32 v7, v49, v7, vcc
	v_add3_u32 v11, v52, v11, s4
	v_and_b32_e32 v15, 0xffff0000, v15
	v_cmp_o_f32_e32 vcc, v53, v53
	v_and_b32_e32 v11, 0xffff0000, v11
	v_cndmask_b32_e32 v53, v48, v15, vcc
	v_cmp_o_f32_e32 vcc, v52, v52
	v_cndmask_b32_e32 v52, v48, v11, vcc
	v_lshlrev_b32_e32 v55, 16, v12
	v_lshlrev_b32_e32 v54, 16, v4
	v_pk_mul_f32 v[52:53], v[52:53], v[54:55]
	v_bfe_u32 v11, v53, 16, 1
	v_add3_u32 v11, v53, v11, s4
	v_bfe_u32 v15, v52, 16, 1
	v_lshrrev_b32_e32 v11, 16, v11
	v_cmp_o_f32_e32 vcc, v53, v53
	v_add3_u32 v15, v52, v15, s4
	v_cndmask_b32_e32 v11, v49, v11, vcc
	v_cmp_o_f32_e32 vcc, v52, v52
	v_and_b32_e32 v53, 0xffff0000, v16
	v_and_b32_e32 v52, 0xffff0000, v8
	v_pk_mul_f32 v[52:53], v[34:35], v[52:53]
	v_bfe_u32 v16, v53, 16, 1
	v_lshrrev_b32_e32 v15, 16, v15
	v_bfe_u32 v8, v52, 16, 1
	v_add3_u32 v16, v53, v16, s4
	v_cndmask_b32_e32 v15, v49, v15, vcc
	v_add3_u32 v8, v52, v8, s4
	v_and_b32_e32 v16, 0xffff0000, v16
	v_cmp_o_f32_e32 vcc, v53, v53
	v_and_b32_e32 v8, 0xffff0000, v8
	v_cndmask_b32_e32 v53, v48, v16, vcc
	v_cmp_o_f32_e32 vcc, v52, v52
	v_cndmask_b32_e32 v52, v48, v8, vcc
	v_and_b32_e32 v55, 0xffff0000, v12
	v_and_b32_e32 v54, 0xffff0000, v4
	v_pk_mul_f32 v[52:53], v[52:53], v[54:55]
	v_bfe_u32 v4, v53, 16, 1
	v_add3_u32 v4, v53, v4, s4
	v_bfe_u32 v8, v52, 16, 1
	v_lshrrev_b32_e32 v4, 16, v4
	v_cmp_o_f32_e32 vcc, v53, v53
	v_add3_u32 v8, v52, v8, s4
	v_cndmask_b32_e32 v56, v49, v4, vcc
	v_cmp_o_f32_e32 vcc, v52, v52
	v_lshlrev_b32_e32 v53, 16, v17
	v_lshlrev_b32_e32 v52, 16, v9
	v_lshrrev_b32_e32 v8, 16, v8
	v_pk_mul_f32 v[52:53], v[34:35], v[52:53]
	v_cndmask_b32_e32 v57, v49, v8, vcc
	v_bfe_u32 v8, v53, 16, 1
	v_bfe_u32 v4, v52, 16, 1
	v_add3_u32 v8, v53, v8, s4
	v_add3_u32 v4, v52, v4, s4
	v_and_b32_e32 v8, 0xffff0000, v8
	v_cmp_o_f32_e32 vcc, v53, v53
	v_and_b32_e32 v4, 0xffff0000, v4
	v_cndmask_b32_e32 v53, v48, v8, vcc
	v_cmp_o_f32_e32 vcc, v52, v52
	v_cndmask_b32_e32 v52, v48, v4, vcc
	v_lshlrev_b32_e32 v55, 16, v13
	v_lshlrev_b32_e32 v54, 16, v5
	v_pk_mul_f32 v[52:53], v[52:53], v[54:55]
	v_bfe_u32 v4, v53, 16, 1
	v_bfe_u32 v8, v52, 16, 1
	v_add3_u32 v4, v53, v4, s4
	v_add3_u32 v8, v52, v8, s4
	v_lshrrev_b32_e32 v4, 16, v4
	v_cmp_o_f32_e32 vcc, v53, v53
	v_lshrrev_b32_e32 v8, 16, v8
	v_cndmask_b32_e32 v53, v49, v4, vcc
	v_cmp_o_f32_e32 vcc, v52, v52
	v_and_b32_e32 v17, 0xffff0000, v17
	v_and_b32_e32 v16, 0xffff0000, v9
	v_cndmask_b32_e32 v52, v49, v8, vcc
	v_pk_mul_f32 v[8:9], v[34:35], v[16:17]
	v_bfe_u32 v12, v9, 16, 1
	v_bfe_u32 v4, v8, 16, 1
	v_add3_u32 v12, v9, v12, s4
	v_add3_u32 v4, v8, v4, s4
	v_and_b32_e32 v12, 0xffff0000, v12
	v_cmp_o_f32_e32 vcc, v9, v9
	v_and_b32_e32 v4, 0xffff0000, v4
	v_cndmask_b32_e32 v9, v48, v12, vcc
	v_cmp_o_f32_e32 vcc, v8, v8
	v_cndmask_b32_e32 v8, v48, v4, vcc
	v_and_b32_e32 v13, 0xffff0000, v13
	v_and_b32_e32 v12, 0xffff0000, v5
	v_pk_mul_f32 v[4:5], v[8:9], v[12:13]
	v_bfe_u32 v8, v5, 16, 1
	v_bfe_u32 v9, v4, 16, 1
	v_add3_u32 v8, v5, v8, s4
	v_add3_u32 v9, v4, v9, s4
	v_lshrrev_b32_e32 v8, 16, v8
	v_cmp_o_f32_e32 vcc, v5, v5
	v_lshrrev_b32_e32 v9, 16, v9
	v_cndmask_b32_e32 v16, v49, v8, vcc
	v_cmp_o_f32_e32 vcc, v4, v4
	v_cndmask_b32_e32 v17, v49, v9, vcc
	v_add_co_u32_e32 v8, vcc, s39, v40
	v_addc_co_u32_e32 v9, vcc, v50, v41, vcc
	v_add_co_u32_e32 v12, vcc, s39, v42
	v_addc_co_u32_e32 v13, vcc, v50, v43, vcc
	v_perm_b32 v5, v7, v14, s5
	v_perm_b32 v4, v6, v33, s5
	;; [unrolled: 1-line block ×4, first 2 shown]
	v_cmp_eq_u32_e32 vcc, 0, v51
	v_perm_b32 v23, v23, v30, s5
	v_perm_b32 v22, v22, v36, s5
	v_perm_b32 v25, v25, v32, s5
	v_perm_b32 v24, v24, v31, s5
	v_perm_b32 v21, v21, v28, s5
	v_perm_b32 v20, v20, v27, s5
	v_perm_b32 v19, v19, v26, s5
	v_perm_b32 v18, v18, v1, s5
	global_store_dwordx4 v[8:9], v[4:7], off offset:16
	v_perm_b32 v3, v3, v10, s5
	v_perm_b32 v5, v16, v53, s5
	;; [unrolled: 1-line block ×4, first 2 shown]
	s_or_b64 s[2:3], vcc, s[2:3]
	global_store_dwordx4 v[8:9], v[22:25], off
	global_store_dwordx4 v[12:13], v[18:21], off
	global_store_dwordx4 v[12:13], v[2:5], off offset:16
	s_andn2_b64 exec, exec, s[2:3]
	s_cbranch_execnz .LBB10_29
; %bb.30:
	s_or_b64 exec, exec, s[2:3]
	v_cmp_ne_u32_e32 vcc, v44, v45
	v_add_u32_e32 v0, v0, v45
	s_orn2_b64 s[2:3], vcc, exec
.LBB10_31:
	s_or_b64 exec, exec, s[0:1]
	s_and_b64 exec, exec, s[2:3]
	s_cbranch_execz .LBB10_34
; %bb.32:
	v_mov_b32_e32 v1, 0
	s_waitcnt lgkmcnt(0)
	v_mov_b32_e32 v35, v34
	v_lshlrev_b64 v[2:3], 5, v[0:1]
	s_lshl_b32 s41, s37, 5
	s_mov_b64 s[34:35], 0
	v_mov_b32_e32 v4, v34
	v_mov_b32_e32 v5, v34
	s_movk_i32 s42, 0x7fff
	v_mov_b32_e32 v1, 0x7fc00000
	v_mov_b32_e32 v10, 0x7fc0
	s_mov_b32 s43, 0x5040100
.LBB10_33:                              ; =>This Inner Loop Header: Depth=1
	v_mov_b32_e32 v7, s36
	v_add_co_u32_e64 v28, s[2:3], s33, v2
	v_mov_b32_e32 v9, s31
	v_add_co_u32_e32 v8, vcc, s30, v2
	v_addc_co_u32_e64 v29, s[2:3], v7, v3, s[2:3]
	v_addc_co_u32_e32 v9, vcc, v9, v3, vcc
	global_load_dwordx4 v[12:15], v[28:29], off
	global_load_dwordx4 v[16:19], v[8:9], off
	global_load_dwordx4 v[20:23], v[28:29], off offset:16
	global_load_dwordx4 v[24:27], v[8:9], off offset:16
	v_add_co_u32_e64 v6, s[0:1], s39, v2
	s_add_u32 s39, s39, s41
	v_mov_b32_e32 v11, s40
	s_addc_u32 s40, s40, 0
	s_add_u32 s33, s33, s41
	s_addc_u32 s36, s36, 0
	v_add_u32_e32 v0, s37, v0
	v_addc_co_u32_e64 v7, vcc, v11, v3, s[0:1]
	s_add_u32 s30, s30, s41
	v_cmp_le_i32_e32 vcc, s38, v0
	s_addc_u32 s31, s31, 0
	s_or_b64 s[34:35], vcc, s[34:35]
	s_waitcnt vmcnt(3)
	v_and_b32_e32 v9, 0xffff0000, v13
	v_lshlrev_b32_e32 v8, 16, v13
	v_and_b32_e32 v13, 0xffff0000, v12
	v_lshlrev_b32_e32 v12, 16, v12
	;; [unrolled: 2-line block ×4, first 2 shown]
	s_waitcnt vmcnt(1)
	v_and_b32_e32 v37, 0xffff0000, v21
	v_lshlrev_b32_e32 v36, 16, v21
	v_and_b32_e32 v21, 0xffff0000, v20
	v_lshlrev_b32_e32 v20, 16, v20
	;; [unrolled: 2-line block ×4, first 2 shown]
	v_pk_mul_f32 v[12:13], v[34:35], v[12:13]
	v_pk_mul_f32 v[8:9], v[4:5], v[8:9]
	;; [unrolled: 1-line block ×8, first 2 shown]
	v_bfe_u32 v11, v12, 16, 1
	v_bfe_u32 v44, v13, 16, 1
	;; [unrolled: 1-line block ×16, first 2 shown]
	v_add3_u32 v46, v9, v46, s42
	v_add3_u32 v45, v8, v45, s42
	;; [unrolled: 1-line block ×16, first 2 shown]
	v_and_b32_e32 v11, 0xffff0000, v11
	v_and_b32_e32 v44, 0xffff0000, v44
	;; [unrolled: 1-line block ×4, first 2 shown]
	v_cmp_o_f32_e32 vcc, v8, v8
	v_cmp_o_f32_e64 s[0:1], v13, v13
	v_cmp_o_f32_e64 s[2:3], v12, v12
	v_and_b32_e32 v47, 0xffff0000, v47
	v_and_b32_e32 v48, 0xffff0000, v48
	;; [unrolled: 1-line block ×4, first 2 shown]
	v_cmp_o_f32_e64 s[4:5], v31, v31
	v_cmp_o_f32_e64 s[6:7], v30, v30
	;; [unrolled: 1-line block ×5, first 2 shown]
	v_and_b32_e32 v29, 0xffff0000, v17
	v_lshlrev_b32_e32 v28, 16, v17
	v_and_b32_e32 v17, 0xffff0000, v16
	v_lshlrev_b32_e32 v16, 16, v16
	;; [unrolled: 2-line block ×4, first 2 shown]
	v_and_b32_e32 v30, 0xffff0000, v51
	v_and_b32_e32 v31, 0xffff0000, v52
	;; [unrolled: 1-line block ×4, first 2 shown]
	v_cmp_o_f32_e64 s[12:13], v37, v37
	v_cmp_o_f32_e64 s[14:15], v36, v36
	;; [unrolled: 1-line block ×4, first 2 shown]
	v_and_b32_e32 v53, 0xffff0000, v55
	v_and_b32_e32 v54, 0xffff0000, v56
	;; [unrolled: 1-line block ×4, first 2 shown]
	v_cmp_o_f32_e64 s[20:21], v41, v41
	v_cmp_o_f32_e64 s[22:23], v40, v40
	v_cmp_o_f32_e64 s[24:25], v23, v23
	v_cmp_o_f32_e64 s[26:27], v22, v22
	v_cndmask_b32_e64 v9, v1, v46, s[28:29]
	v_cndmask_b32_e32 v8, v1, v45, vcc
	v_cndmask_b32_e64 v13, v1, v44, s[0:1]
	v_cndmask_b32_e64 v12, v1, v11, s[2:3]
	;; [unrolled: 1-line block ×6, first 2 shown]
	s_waitcnt vmcnt(0)
	v_and_b32_e32 v39, 0xffff0000, v25
	v_lshlrev_b32_e32 v38, 16, v25
	v_and_b32_e32 v25, 0xffff0000, v24
	v_lshlrev_b32_e32 v24, 16, v24
	;; [unrolled: 2-line block ×4, first 2 shown]
	v_cndmask_b32_e64 v23, v1, v52, s[12:13]
	v_cndmask_b32_e64 v22, v1, v51, s[14:15]
	;; [unrolled: 1-line block ×8, first 2 shown]
	v_pk_mul_f32 v[12:13], v[12:13], v[16:17]
	v_pk_mul_f32 v[8:9], v[8:9], v[28:29]
	v_pk_mul_f32 v[16:17], v[20:21], v[18:19]
	v_pk_mul_f32 v[14:15], v[14:15], v[32:33]
	v_pk_mul_f32 v[18:19], v[30:31], v[24:25]
	v_pk_mul_f32 v[20:21], v[22:23], v[38:39]
	v_pk_mul_f32 v[22:23], v[40:41], v[26:27]
	v_pk_mul_f32 v[24:25], v[36:37], v[42:43]
	v_bfe_u32 v11, v12, 16, 1
	v_bfe_u32 v26, v13, 16, 1
	;; [unrolled: 1-line block ×16, first 2 shown]
	v_add3_u32 v28, v9, v28, s42
	v_add3_u32 v27, v8, v27, s42
	;; [unrolled: 1-line block ×16, first 2 shown]
	v_lshrrev_b32_e32 v11, 16, v11
	v_lshrrev_b32_e32 v26, 16, v26
	;; [unrolled: 1-line block ×4, first 2 shown]
	v_cmp_o_f32_e32 vcc, v13, v13
	v_cmp_o_f32_e64 s[0:1], v8, v8
	v_cmp_o_f32_e64 s[2:3], v9, v9
	v_lshrrev_b32_e32 v8, 16, v29
	v_lshrrev_b32_e32 v9, 16, v30
	v_lshrrev_b32_e32 v13, 16, v31
	v_lshrrev_b32_e32 v29, 16, v32
	v_cmp_o_f32_e64 s[4:5], v16, v16
	v_cmp_o_f32_e64 s[6:7], v17, v17
	;; [unrolled: 1-line block ×5, first 2 shown]
	v_lshrrev_b32_e32 v14, 16, v33
	v_lshrrev_b32_e32 v15, 16, v36
	;; [unrolled: 1-line block ×4, first 2 shown]
	v_cmp_o_f32_e64 s[12:13], v18, v18
	v_cmp_o_f32_e64 s[14:15], v19, v19
	v_cmp_o_f32_e64 s[16:17], v20, v20
	v_cmp_o_f32_e64 s[18:19], v21, v21
	v_lshrrev_b32_e32 v18, 16, v39
	v_lshrrev_b32_e32 v19, 16, v40
	;; [unrolled: 1-line block ×4, first 2 shown]
	v_cmp_o_f32_e64 s[20:21], v22, v22
	v_cmp_o_f32_e64 s[22:23], v23, v23
	;; [unrolled: 1-line block ×4, first 2 shown]
	v_cndmask_b32_e64 v11, v10, v11, s[28:29]
	v_cndmask_b32_e32 v12, v10, v26, vcc
	v_cndmask_b32_e64 v22, v10, v27, s[0:1]
	v_cndmask_b32_e64 v23, v10, v28, s[2:3]
	v_cndmask_b32_e64 v8, v10, v8, s[4:5]
	v_cndmask_b32_e64 v9, v10, v9, s[6:7]
	v_cndmask_b32_e64 v13, v10, v13, s[8:9]
	v_cndmask_b32_e64 v24, v10, v29, s[10:11]
	v_cndmask_b32_e64 v25, v10, v14, s[12:13]
	v_cndmask_b32_e64 v26, v10, v15, s[14:15]
	v_cndmask_b32_e64 v16, v10, v16, s[16:17]
	v_cndmask_b32_e64 v17, v10, v17, s[18:19]
	v_cndmask_b32_e64 v18, v10, v18, s[20:21]
	v_cndmask_b32_e64 v27, v10, v19, s[22:23]
	v_cndmask_b32_e64 v19, v10, v20, s[24:25]
	v_cndmask_b32_e64 v20, v10, v21, s[26:27]
	v_perm_b32 v15, v24, v13, s43
	v_perm_b32 v14, v9, v8, s43
	;; [unrolled: 1-line block ×8, first 2 shown]
	global_store_dwordx4 v[6:7], v[12:15], off
	global_store_dwordx4 v[6:7], v[16:19], off offset:16
	s_andn2_b64 exec, exec, s[34:35]
	s_cbranch_execnz .LBB10_33
.LBB10_34:
	s_endpgm
	.section	.rodata,"a",@progbits
	.p2align	6, 0x0
	.amdhsa_kernel _ZN4vllm15rms_norm_kernelIN3c108BFloat16ELi16ELi2EEEvPT_PKS3_lllllS6_fii
		.amdhsa_group_segment_fixed_size 68
		.amdhsa_private_segment_fixed_size 0
		.amdhsa_kernarg_size 336
		.amdhsa_user_sgpr_count 6
		.amdhsa_user_sgpr_private_segment_buffer 1
		.amdhsa_user_sgpr_dispatch_ptr 0
		.amdhsa_user_sgpr_queue_ptr 0
		.amdhsa_user_sgpr_kernarg_segment_ptr 1
		.amdhsa_user_sgpr_dispatch_id 0
		.amdhsa_user_sgpr_flat_scratch_init 0
		.amdhsa_user_sgpr_kernarg_preload_length 0
		.amdhsa_user_sgpr_kernarg_preload_offset 0
		.amdhsa_user_sgpr_private_segment_size 0
		.amdhsa_uses_dynamic_stack 0
		.amdhsa_system_sgpr_private_segment_wavefront_offset 0
		.amdhsa_system_sgpr_workgroup_id_x 1
		.amdhsa_system_sgpr_workgroup_id_y 0
		.amdhsa_system_sgpr_workgroup_id_z 0
		.amdhsa_system_sgpr_workgroup_info 0
		.amdhsa_system_vgpr_workitem_id 0
		.amdhsa_next_free_vgpr 59
		.amdhsa_next_free_sgpr 44
		.amdhsa_accum_offset 60
		.amdhsa_reserve_vcc 1
		.amdhsa_reserve_flat_scratch 0
		.amdhsa_float_round_mode_32 0
		.amdhsa_float_round_mode_16_64 0
		.amdhsa_float_denorm_mode_32 3
		.amdhsa_float_denorm_mode_16_64 3
		.amdhsa_dx10_clamp 1
		.amdhsa_ieee_mode 1
		.amdhsa_fp16_overflow 0
		.amdhsa_tg_split 0
		.amdhsa_exception_fp_ieee_invalid_op 0
		.amdhsa_exception_fp_denorm_src 0
		.amdhsa_exception_fp_ieee_div_zero 0
		.amdhsa_exception_fp_ieee_overflow 0
		.amdhsa_exception_fp_ieee_underflow 0
		.amdhsa_exception_fp_ieee_inexact 0
		.amdhsa_exception_int_div_zero 0
	.end_amdhsa_kernel
	.section	.text._ZN4vllm15rms_norm_kernelIN3c108BFloat16ELi16ELi2EEEvPT_PKS3_lllllS6_fii,"axG",@progbits,_ZN4vllm15rms_norm_kernelIN3c108BFloat16ELi16ELi2EEEvPT_PKS3_lllllS6_fii,comdat
.Lfunc_end10:
	.size	_ZN4vllm15rms_norm_kernelIN3c108BFloat16ELi16ELi2EEEvPT_PKS3_lllllS6_fii, .Lfunc_end10-_ZN4vllm15rms_norm_kernelIN3c108BFloat16ELi16ELi2EEEvPT_PKS3_lllllS6_fii
                                        ; -- End function
	.section	.AMDGPU.csdata,"",@progbits
; Kernel info:
; codeLenInByte = 6968
; NumSgprs: 48
; NumVgprs: 59
; NumAgprs: 0
; TotalNumVgprs: 59
; ScratchSize: 0
; MemoryBound: 0
; FloatMode: 240
; IeeeMode: 1
; LDSByteSize: 68 bytes/workgroup (compile time only)
; SGPRBlocks: 5
; VGPRBlocks: 7
; NumSGPRsForWavesPerEU: 48
; NumVGPRsForWavesPerEU: 59
; AccumOffset: 60
; Occupancy: 8
; WaveLimiterHint : 0
; COMPUTE_PGM_RSRC2:SCRATCH_EN: 0
; COMPUTE_PGM_RSRC2:USER_SGPR: 6
; COMPUTE_PGM_RSRC2:TRAP_HANDLER: 0
; COMPUTE_PGM_RSRC2:TGID_X_EN: 1
; COMPUTE_PGM_RSRC2:TGID_Y_EN: 0
; COMPUTE_PGM_RSRC2:TGID_Z_EN: 0
; COMPUTE_PGM_RSRC2:TIDIG_COMP_CNT: 0
; COMPUTE_PGM_RSRC3_GFX90A:ACCUM_OFFSET: 14
; COMPUTE_PGM_RSRC3_GFX90A:TG_SPLIT: 0
	.section	.text._ZN4vllm15rms_norm_kernelIN3c108BFloat16ELi8ELi2EEEvPT_PKS3_lllllS6_fii,"axG",@progbits,_ZN4vllm15rms_norm_kernelIN3c108BFloat16ELi8ELi2EEEvPT_PKS3_lllllS6_fii,comdat
	.protected	_ZN4vllm15rms_norm_kernelIN3c108BFloat16ELi8ELi2EEEvPT_PKS3_lllllS6_fii ; -- Begin function _ZN4vllm15rms_norm_kernelIN3c108BFloat16ELi8ELi2EEEvPT_PKS3_lllllS6_fii
	.globl	_ZN4vllm15rms_norm_kernelIN3c108BFloat16ELi8ELi2EEEvPT_PKS3_lllllS6_fii
	.p2align	8
	.type	_ZN4vllm15rms_norm_kernelIN3c108BFloat16ELi8ELi2EEEvPT_PKS3_lllllS6_fii,@function
_ZN4vllm15rms_norm_kernelIN3c108BFloat16ELi8ELi2EEEvPT_PKS3_lllllS6_fii: ; @_ZN4vllm15rms_norm_kernelIN3c108BFloat16ELi8ELi2EEEvPT_PKS3_lllllS6_fii
; %bb.0:
	s_load_dwordx4 s[36:39], s[4:5], 0x8
	s_load_dword s10, s[4:5], 0x48
	s_load_dword s2, s[4:5], 0x5c
	s_waitcnt lgkmcnt(0)
	s_mul_i32 s0, s6, s39
	s_mul_hi_u32 s1, s6, s38
	s_add_i32 s1, s1, s0
	s_mul_i32 s0, s6, s38
	s_lshl_b64 s[30:31], s[0:1], 1
	s_add_u32 s42, s36, s30
	s_addc_u32 s7, s37, s31
	s_and_b32 s33, s2, 0xffff
	s_and_b32 s0, s42, 15
	s_mov_b32 s1, 0
	s_cmp_lg_u64 s[0:1], 0
	s_cselect_b64 s[0:1], -1, 0
	s_and_b32 s2, s10, 7
	s_cmp_lg_u32 s2, 0
	s_cselect_b64 s[2:3], -1, 0
	s_or_b64 s[0:1], s[0:1], s[2:3]
	s_and_b64 vcc, exec, s[0:1]
	s_cbranch_vccz .LBB11_14
; %bb.1:
	s_sub_i32 s0, 0, s42
	s_bfe_u32 s0, s0, 0x30001
	s_min_i32 s0, s0, s10
	v_cmp_gt_i32_e32 vcc, s0, v0
	v_mov_b32_e32 v1, 0
	s_and_saveexec_b64 s[2:3], vcc
	s_cbranch_execz .LBB11_5
; %bb.2:
	s_add_u32 s1, s36, s30
	v_lshlrev_b32_e32 v1, 1, v0
	s_addc_u32 s8, s37, s31
	s_mov_b32 s11, 0
	v_mov_b32_e32 v3, s8
	v_add_co_u32_e32 v2, vcc, s1, v1
	v_addc_co_u32_e32 v3, vcc, 0, v3, vcc
	s_lshl_b32 s1, s33, 1
	s_mov_b64 s[8:9], 0
	v_mov_b32_e32 v1, 0
	v_mov_b32_e32 v4, s11
	;; [unrolled: 1-line block ×3, first 2 shown]
.LBB11_3:                               ; =>This Inner Loop Header: Depth=1
	global_load_ushort v6, v[2:3], off
	v_add_co_u32_e32 v2, vcc, s1, v2
	v_add_u32_e32 v5, s33, v5
	v_addc_co_u32_e32 v3, vcc, v3, v4, vcc
	v_cmp_le_i32_e32 vcc, s0, v5
	s_or_b64 s[8:9], vcc, s[8:9]
	s_waitcnt vmcnt(0)
	v_lshlrev_b32_e32 v6, 16, v6
	v_fmac_f32_e32 v1, v6, v6
	s_andn2_b64 exec, exec, s[8:9]
	s_cbranch_execnz .LBB11_3
; %bb.4:
	s_or_b64 exec, exec, s[8:9]
.LBB11_5:
	s_or_b64 exec, exec, s[2:3]
	s_sub_i32 s11, s10, s0
	s_ashr_i32 s2, s11, 31
	s_lshr_b32 s2, s2, 29
	s_add_i32 s2, s11, s2
	s_ashr_i32 s12, s2, 3
	s_ashr_i32 s1, s0, 31
	v_cmp_gt_i32_e32 vcc, s12, v0
	s_and_saveexec_b64 s[2:3], vcc
	s_cbranch_execz .LBB11_9
; %bb.6:
	s_lshl_b64 s[8:9], s[0:1], 1
	s_add_u32 s8, s36, s8
	s_addc_u32 s9, s37, s9
	s_add_u32 s8, s8, s30
	v_lshlrev_b32_e32 v2, 4, v0
	s_addc_u32 s9, s9, s31
	v_mov_b32_e32 v3, s9
	v_add_co_u32_e32 v2, vcc, s8, v2
	v_addc_co_u32_e32 v3, vcc, 0, v3, vcc
	s_mov_b32 s14, 0
	v_add_co_u32_e32 v2, vcc, 8, v2
	v_addc_co_u32_e32 v3, vcc, 0, v3, vcc
	s_lshl_b32 s13, s33, 4
	s_mov_b64 s[8:9], 0
	v_mov_b32_e32 v4, s14
	v_mov_b32_e32 v5, v0
.LBB11_7:                               ; =>This Inner Loop Header: Depth=1
	global_load_dwordx4 v[6:9], v[2:3], off offset:-8
	v_add_co_u32_e32 v2, vcc, s13, v2
	v_add_u32_e32 v5, s33, v5
	v_addc_co_u32_e32 v3, vcc, v3, v4, vcc
	v_cmp_le_i32_e32 vcc, s12, v5
	s_or_b64 s[8:9], vcc, s[8:9]
	s_waitcnt vmcnt(0)
	v_and_b32_e32 v11, 0xffff0000, v6
	v_lshlrev_b32_e32 v10, 16, v6
	v_and_b32_e32 v13, 0xffff0000, v7
	v_lshlrev_b32_e32 v12, 16, v7
	;; [unrolled: 2-line block ×4, first 2 shown]
	v_pk_mul_f32 v[8:9], v[10:11], v[10:11]
	v_add_f32_e32 v1, v1, v8
	v_pk_mul_f32 v[10:11], v[12:13], v[12:13]
	v_add_f32_e32 v1, v1, v9
	v_add_f32_e32 v1, v1, v10
	v_pk_mul_f32 v[6:7], v[6:7], v[6:7]
	v_add_f32_e32 v1, v1, v11
	;; [unrolled: 3-line block ×3, first 2 shown]
	v_add_f32_e32 v1, v1, v12
	v_add_f32_e32 v1, v1, v13
	s_andn2_b64 exec, exec, s[8:9]
	s_cbranch_execnz .LBB11_7
; %bb.8:
	s_or_b64 exec, exec, s[8:9]
.LBB11_9:
	s_or_b64 exec, exec, s[2:3]
	v_lshl_add_u32 v2, s12, 3, v0
	v_cmp_gt_i32_e32 vcc, s11, v2
	s_and_saveexec_b64 s[2:3], vcc
	s_cbranch_execz .LBB11_13
; %bb.10:
	s_lshl_b64 s[0:1], s[0:1], 1
	s_add_u32 s0, s30, s0
	s_addc_u32 s1, s31, s1
	v_ashrrev_i32_e32 v3, 31, v2
	s_add_u32 s0, s36, s0
	v_lshlrev_b64 v[4:5], 1, v[2:3]
	s_addc_u32 s1, s37, s1
	v_mov_b32_e32 v3, s1
	v_add_co_u32_e32 v4, vcc, s0, v4
	s_mov_b32 s9, 0
	v_addc_co_u32_e32 v5, vcc, v3, v5, vcc
	s_lshl_b32 s8, s33, 1
	s_mov_b64 s[0:1], 0
	v_mov_b32_e32 v3, s9
.LBB11_11:                              ; =>This Inner Loop Header: Depth=1
	global_load_ushort v6, v[4:5], off
	v_add_co_u32_e32 v4, vcc, s8, v4
	v_add_u32_e32 v2, s33, v2
	v_addc_co_u32_e32 v5, vcc, v5, v3, vcc
	v_cmp_le_i32_e32 vcc, s11, v2
	s_or_b64 s[0:1], vcc, s[0:1]
	s_waitcnt vmcnt(0)
	v_lshlrev_b32_e32 v6, 16, v6
	v_fmac_f32_e32 v1, v6, v6
	s_andn2_b64 exec, exec, s[0:1]
	s_cbranch_execnz .LBB11_11
; %bb.12:
	s_or_b64 exec, exec, s[0:1]
.LBB11_13:
	s_or_b64 exec, exec, s[2:3]
	s_branch .LBB11_20
.LBB11_14:
                                        ; implicit-def: $vgpr1
	s_cbranch_execz .LBB11_20
; %bb.15:
	s_ashr_i32 s8, s10, 3
	v_cmp_gt_i32_e32 vcc, s8, v0
	v_mov_b32_e32 v1, 0
	s_and_saveexec_b64 s[0:1], vcc
	s_cbranch_execz .LBB11_19
; %bb.16:
	s_add_u32 s2, s36, s30
	v_lshlrev_b32_e32 v1, 4, v0
	s_addc_u32 s3, s37, s31
	v_mov_b32_e32 v2, s3
	v_add_co_u32_e32 v1, vcc, s2, v1
	v_addc_co_u32_e32 v3, vcc, 0, v2, vcc
	s_mov_b32 s11, 0
	v_add_co_u32_e32 v2, vcc, 8, v1
	v_addc_co_u32_e32 v3, vcc, 0, v3, vcc
	s_lshl_b32 s9, s33, 4
	s_mov_b64 s[2:3], 0
	v_mov_b32_e32 v1, 0
	v_mov_b32_e32 v4, s11
	;; [unrolled: 1-line block ×3, first 2 shown]
.LBB11_17:                              ; =>This Inner Loop Header: Depth=1
	global_load_dwordx4 v[6:9], v[2:3], off offset:-8
	v_add_co_u32_e32 v2, vcc, s9, v2
	v_add_u32_e32 v5, s33, v5
	v_addc_co_u32_e32 v3, vcc, v3, v4, vcc
	v_cmp_le_i32_e32 vcc, s8, v5
	s_or_b64 s[2:3], vcc, s[2:3]
	s_waitcnt vmcnt(0)
	v_and_b32_e32 v11, 0xffff0000, v6
	v_lshlrev_b32_e32 v10, 16, v6
	v_and_b32_e32 v13, 0xffff0000, v7
	v_lshlrev_b32_e32 v12, 16, v7
	;; [unrolled: 2-line block ×4, first 2 shown]
	v_pk_mul_f32 v[8:9], v[10:11], v[10:11]
	v_add_f32_e32 v1, v1, v8
	v_pk_mul_f32 v[10:11], v[12:13], v[12:13]
	v_add_f32_e32 v1, v9, v1
	v_add_f32_e32 v1, v10, v1
	v_pk_mul_f32 v[6:7], v[6:7], v[6:7]
	v_add_f32_e32 v1, v11, v1
	;; [unrolled: 3-line block ×3, first 2 shown]
	v_add_f32_e32 v1, v12, v1
	v_add_f32_e32 v1, v13, v1
	s_andn2_b64 exec, exec, s[2:3]
	s_cbranch_execnz .LBB11_17
; %bb.18:
	s_or_b64 exec, exec, s[2:3]
.LBB11_19:
	s_or_b64 exec, exec, s[0:1]
.LBB11_20:
	v_mbcnt_lo_u32_b32 v2, -1, 0
	v_mbcnt_hi_u32_b32 v2, -1, v2
	v_and_b32_e32 v3, 63, v2
	v_cmp_ne_u32_e32 vcc, 63, v3
	v_addc_co_u32_e32 v4, vcc, 0, v2, vcc
	v_lshlrev_b32_e32 v4, 2, v4
	ds_bpermute_b32 v4, v4, v1
	v_and_b32_e32 v5, 0x3c0, v0
	v_sub_u32_e64 v5, s33, v5 clamp
	v_add_u32_e32 v6, 1, v2
	v_cmp_lt_u32_e32 vcc, v6, v5
	s_waitcnt lgkmcnt(0)
	v_add_f32_e32 v4, v1, v4
	v_cndmask_b32_e32 v1, v1, v4, vcc
	v_cmp_gt_u32_e32 vcc, 62, v3
	v_cndmask_b32_e64 v4, 0, 1, vcc
	v_lshlrev_b32_e32 v4, 1, v4
	v_add_lshl_u32 v4, v4, v2, 2
	ds_bpermute_b32 v4, v4, v1
	v_add_u32_e32 v6, 2, v2
	v_cmp_lt_u32_e32 vcc, v6, v5
	v_add_u32_e32 v6, 4, v2
	s_waitcnt lgkmcnt(0)
	v_add_f32_e32 v4, v1, v4
	v_cndmask_b32_e32 v1, v1, v4, vcc
	v_cmp_gt_u32_e32 vcc, 60, v3
	v_cndmask_b32_e64 v4, 0, 1, vcc
	v_lshlrev_b32_e32 v4, 2, v4
	v_add_lshl_u32 v4, v4, v2, 2
	ds_bpermute_b32 v4, v4, v1
	v_cmp_lt_u32_e32 vcc, v6, v5
	v_add_u32_e32 v6, 8, v2
	s_waitcnt lgkmcnt(0)
	v_add_f32_e32 v4, v1, v4
	v_cndmask_b32_e32 v1, v1, v4, vcc
	v_cmp_gt_u32_e32 vcc, 56, v3
	v_cndmask_b32_e64 v4, 0, 1, vcc
	v_lshlrev_b32_e32 v4, 3, v4
	v_add_lshl_u32 v4, v4, v2, 2
	ds_bpermute_b32 v4, v4, v1
	;; [unrolled: 10-line block ×3, first 2 shown]
	v_cmp_lt_u32_e32 vcc, v6, v5
	s_waitcnt lgkmcnt(0)
	v_add_f32_e32 v4, v1, v4
	v_cndmask_b32_e32 v1, v1, v4, vcc
	v_cmp_gt_u32_e32 vcc, 32, v3
	v_cndmask_b32_e64 v3, 0, 1, vcc
	v_lshlrev_b32_e32 v3, 5, v3
	v_add_lshl_u32 v3, v3, v2, 2
	ds_bpermute_b32 v3, v3, v1
	v_add_u32_e32 v4, 32, v2
	v_cmp_lt_u32_e32 vcc, v4, v5
	s_waitcnt lgkmcnt(0)
	v_add_f32_e32 v3, v1, v3
	v_cndmask_b32_e32 v1, v1, v3, vcc
	v_cmp_eq_u32_e32 vcc, 0, v2
	s_and_saveexec_b64 s[0:1], vcc
	s_cbranch_execz .LBB11_22
; %bb.21:
	v_lshrrev_b32_e32 v3, 4, v0
	v_and_b32_e32 v3, 60, v3
	ds_write_b32 v3, v1
.LBB11_22:
	s_or_b64 exec, exec, s[0:1]
	v_cmp_gt_u32_e32 vcc, 16, v0
	s_waitcnt lgkmcnt(0)
	s_barrier
	s_and_saveexec_b64 s[2:3], vcc
	s_cbranch_execz .LBB11_24
; %bb.23:
	v_lshlrev_b32_e32 v1, 2, v2
	ds_read_b32 v1, v1
	v_and_b32_e32 v3, 15, v2
	v_cmp_ne_u32_e32 vcc, 15, v3
	v_addc_co_u32_e32 v4, vcc, 0, v2, vcc
	v_lshlrev_b32_e32 v4, 2, v4
	s_waitcnt lgkmcnt(0)
	ds_bpermute_b32 v4, v4, v1
	s_add_i32 s0, s33, 63
	s_lshr_b32 s8, s0, 6
	v_add_u32_e32 v5, 1, v3
	v_cmp_gt_u32_e64 s[0:1], 14, v3
	v_cmp_gt_u32_e32 vcc, s8, v5
	v_cndmask_b32_e64 v5, 0, 1, s[0:1]
	s_waitcnt lgkmcnt(0)
	v_add_f32_e32 v4, v1, v4
	v_lshlrev_b32_e32 v5, 1, v5
	v_cndmask_b32_e32 v4, v1, v4, vcc
	v_add_lshl_u32 v5, v5, v2, 2
	ds_bpermute_b32 v5, v5, v4
	v_add_u32_e32 v6, 2, v3
	v_cmp_gt_u32_e64 s[0:1], s8, v6
	v_add_u32_e32 v6, 4, v3
	s_waitcnt lgkmcnt(0)
	v_add_f32_e32 v5, v4, v5
	v_cndmask_b32_e64 v4, v4, v5, s[0:1]
	v_cmp_gt_u32_e64 s[0:1], 12, v3
	v_cndmask_b32_e64 v5, 0, 1, s[0:1]
	v_lshlrev_b32_e32 v5, 2, v5
	v_add_lshl_u32 v5, v5, v2, 2
	ds_bpermute_b32 v5, v5, v4
	v_cmp_gt_u32_e64 s[0:1], s8, v6
	s_waitcnt lgkmcnt(0)
	v_add_f32_e32 v5, v4, v5
	v_cndmask_b32_e64 v4, v4, v5, s[0:1]
	v_cmp_gt_u32_e64 s[0:1], 8, v3
	v_cndmask_b32_e64 v5, 0, 1, s[0:1]
	v_lshlrev_b32_e32 v5, 3, v5
	v_add_lshl_u32 v2, v5, v2, 2
	ds_bpermute_b32 v2, v2, v4
	v_add_u32_e32 v3, 8, v3
	v_cmp_gt_u32_e64 s[0:1], s8, v3
	s_waitcnt lgkmcnt(0)
	v_add_f32_e32 v2, v4, v2
	v_cndmask_b32_e64 v2, v4, v2, s[0:1]
	v_cndmask_b32_e32 v1, v1, v2, vcc
.LBB11_24:
	s_or_b64 exec, exec, s[2:3]
	v_cmp_eq_u32_e32 vcc, 0, v0
	s_and_saveexec_b64 s[0:1], vcc
	s_cbranch_execz .LBB11_26
; %bb.25:
	v_cvt_f32_i32_e32 v2, s10
	s_load_dword s8, s[4:5], 0x40
	v_div_scale_f32 v3, s[2:3], v2, v2, v1
	v_rcp_f32_e32 v4, v3
	v_div_scale_f32 v5, vcc, v1, v2, v1
	s_mov_b32 s2, 0x800000
	v_fma_f32 v6, -v3, v4, 1.0
	v_fmac_f32_e32 v4, v6, v4
	v_mul_f32_e32 v6, v5, v4
	v_fma_f32 v7, -v3, v6, v5
	v_fmac_f32_e32 v6, v7, v4
	v_fma_f32 v3, -v3, v6, v5
	v_div_fmas_f32 v3, v3, v4, v6
	v_div_fixup_f32 v1, v3, v2, v1
	s_waitcnt lgkmcnt(0)
	v_add_f32_e32 v1, s8, v1
	v_mul_f32_e32 v2, 0x4b800000, v1
	v_cmp_gt_f32_e32 vcc, s2, v1
	v_cndmask_b32_e32 v1, v1, v2, vcc
	v_rsq_f32_e32 v1, v1
	v_mul_f32_e32 v2, 0x45800000, v1
	v_cndmask_b32_e32 v1, v1, v2, vcc
	v_mov_b32_e32 v2, 0
	ds_write_b32 v2, v1 offset:64
.LBB11_26:
	s_or_b64 exec, exec, s[0:1]
	s_ashr_i32 s0, s10, 31
	s_lshr_b32 s0, s0, 29
	s_add_i32 s0, s10, s0
	s_ashr_i32 s43, s0, 3
	v_cmp_gt_i32_e32 vcc, s43, v0
	s_waitcnt lgkmcnt(0)
	s_barrier
	s_and_saveexec_b64 s[0:1], vcc
	s_cbranch_execz .LBB11_34
; %bb.27:
	v_cvt_f32_u32_e32 v1, s33
	s_load_dwordx2 s[0:1], s[4:5], 0x0
	s_load_dwordx2 s[34:35], s[4:5], 0x38
	s_mul_i32 s2, s6, s10
	s_mov_b32 s3, 0
	v_rcp_iflag_f32_e32 v1, v1
	s_lshl_b64 s[2:3], s[2:3], 1
	v_add_u32_e32 v3, s33, v0
	s_waitcnt lgkmcnt(0)
	s_add_u32 s44, s0, s2
	v_mul_f32_e32 v1, 0x4f7ffffe, v1
	v_cvt_u32_f32_e32 v1, v1
	v_mov_b32_e32 v6, s33
	v_cmp_gt_i32_e32 vcc, s43, v3
	s_addc_u32 s45, s1, s3
	v_max_i32_e32 v4, s43, v3
	v_addc_co_u32_e64 v3, s[0:1], v0, v6, vcc
	s_sub_i32 s0, 0, s33
	v_sub_u32_e32 v3, v4, v3
	v_mul_lo_u32 v4, s0, v1
	v_mul_hi_u32 v4, v1, v4
	v_add_u32_e32 v1, v1, v4
	v_mul_hi_u32 v1, v3, v1
	v_mul_lo_u32 v4, v1, s33
	v_sub_u32_e32 v3, v3, v4
	v_add_u32_e32 v4, 1, v1
	v_cmp_le_u32_e64 s[0:1], s33, v3
	v_cndmask_b32_e64 v1, v1, v4, s[0:1]
	v_subrev_u32_e32 v4, s33, v3
	v_mov_b32_e32 v5, 0
	v_cndmask_b32_e64 v3, v3, v4, s[0:1]
	ds_read_b32 v2, v5 offset:64
	v_add_u32_e32 v4, 1, v1
	v_cmp_le_u32_e64 s[0:1], s33, v3
	v_cndmask_b32_e64 v1, v1, v4, s[0:1]
	v_addc_co_u32_e32 v12, vcc, 1, v1, vcc
	s_cmp_eq_u32 s33, 1
	v_cmp_lt_u32_e32 vcc, 1, v12
	s_cselect_b64 s[0:1], -1, 0
	s_and_b64 s[2:3], vcc, s[0:1]
	s_mov_b64 s[0:1], -1
	s_and_saveexec_b64 s[38:39], s[2:3]
	s_cbranch_execz .LBB11_31
; %bb.28:
	v_and_b32_e32 v13, -2, v12
	v_add_u32_e32 v1, 1, v0
	s_waitcnt lgkmcnt(0)
	v_mov_b32_e32 v3, v2
	s_mov_b64 s[40:41], 0
	v_mov_b32_e32 v14, s7
	v_mov_b32_e32 v15, s35
	s_movk_i32 s46, 0x7fff
	v_mov_b32_e32 v16, 0x7fc00000
	v_mov_b32_e32 v17, 0x7fc0
	v_mov_b32_e32 v18, s45
	s_mov_b32 s47, 0x5040100
	v_mov_b32_e32 v19, v13
	v_pk_mov_b32 v[6:7], v[0:1], v[0:1] op_sel:[0,1]
.LBB11_29:                              ; =>This Inner Loop Header: Depth=1
	v_mov_b32_e32 v4, v6
	v_add_u32_e32 v19, -2, v19
	v_lshlrev_b64 v[8:9], 4, v[4:5]
	v_mov_b32_e32 v4, v7
	v_cmp_eq_u32_e32 vcc, 0, v19
	v_lshlrev_b64 v[28:29], 4, v[4:5]
	s_or_b64 s[40:41], vcc, s[40:41]
	v_add_co_u32_e32 v36, vcc, s42, v28
	v_add_co_u32_e64 v10, s[0:1], s42, v8
	v_addc_co_u32_e32 v37, vcc, v14, v29, vcc
	v_addc_co_u32_e64 v11, s[0:1], v14, v9, s[0:1]
	v_add_co_u32_e32 v38, vcc, s34, v28
	v_add_co_u32_e64 v30, s[0:1], s34, v8
	v_addc_co_u32_e32 v39, vcc, v15, v29, vcc
	v_addc_co_u32_e64 v31, s[0:1], v15, v9, s[0:1]
	global_load_dwordx4 v[20:23], v[10:11], off
	global_load_dwordx4 v[24:27], v[30:31], off
	v_add_co_u32_e32 v10, vcc, s44, v28
	v_addc_co_u32_e32 v11, vcc, v18, v29, vcc
	global_load_dwordx4 v[28:31], v[36:37], off
	global_load_dwordx4 v[32:35], v[38:39], off
	v_add_co_u32_e64 v8, s[0:1], s44, v8
	v_addc_co_u32_e64 v9, s[0:1], v18, v9, s[0:1]
	v_add_u32_e32 v6, 2, v6
	v_add_u32_e32 v7, 2, v7
	s_waitcnt vmcnt(3)
	v_lshlrev_b32_e32 v36, 16, v20
	v_and_b32_e32 v20, 0xffff0000, v20
	v_lshlrev_b32_e32 v40, 16, v21
	v_and_b32_e32 v44, 0xffff0000, v21
	v_lshlrev_b32_e32 v48, 16, v22
	s_waitcnt vmcnt(1)
	v_and_b32_e32 v21, 0xffff0000, v28
	v_lshlrev_b32_e32 v41, 16, v29
	v_and_b32_e32 v22, 0xffff0000, v22
	v_lshlrev_b32_e32 v52, 16, v23
	;; [unrolled: 2-line block ×5, first 2 shown]
	v_and_b32_e32 v57, 0xffff0000, v31
	v_pk_mul_f32 v[20:21], v[2:3], v[20:21]
	v_pk_mul_f32 v[30:31], v[2:3], v[40:41]
	v_lshlrev_b32_e32 v42, 16, v25
	v_and_b32_e32 v46, 0xffff0000, v25
	v_lshlrev_b32_e32 v54, 16, v27
	v_and_b32_e32 v58, 0xffff0000, v27
	s_waitcnt vmcnt(0)
	v_lshlrev_b32_e32 v39, 16, v32
	v_and_b32_e32 v25, 0xffff0000, v32
	v_lshlrev_b32_e32 v43, 16, v33
	v_and_b32_e32 v47, 0xffff0000, v33
	;; [unrolled: 2-line block ×4, first 2 shown]
	v_pk_mul_f32 v[28:29], v[2:3], v[36:37]
	v_pk_mul_f32 v[32:33], v[2:3], v[44:45]
	;; [unrolled: 1-line block ×6, first 2 shown]
	v_bfe_u32 v44, v20, 16, 1
	v_bfe_u32 v45, v21, 16, 1
	;; [unrolled: 1-line block ×12, first 2 shown]
	v_add3_u32 v45, v21, v45, s46
	v_add3_u32 v44, v20, v44, s46
	v_cmp_o_f32_e32 vcc, v21, v21
	v_cmp_o_f32_e64 s[0:1], v20, v20
	v_bfe_u32 v20, v36, 16, 1
	v_bfe_u32 v21, v37, 16, 1
	v_add3_u32 v49, v31, v49, s46
	v_add3_u32 v48, v30, v48, s46
	v_cmp_o_f32_e64 s[2:3], v31, v31
	v_cmp_o_f32_e64 s[4:5], v30, v30
	v_bfe_u32 v30, v40, 16, 1
	v_bfe_u32 v31, v41, 16, 1
	v_add3_u32 v4, v29, v4, s46
	v_add3_u32 v1, v28, v1, s46
	;; [unrolled: 1-line block ×12, first 2 shown]
	v_and_b32_e32 v44, 0xffff0000, v44
	v_and_b32_e32 v45, 0xffff0000, v45
	;; [unrolled: 1-line block ×6, first 2 shown]
	v_cmp_o_f32_e64 s[6:7], v28, v28
	v_and_b32_e32 v52, 0xffff0000, v52
	v_and_b32_e32 v53, 0xffff0000, v53
	v_cmp_o_f32_e64 s[8:9], v33, v33
	v_cmp_o_f32_e64 s[10:11], v32, v32
	v_and_b32_e32 v32, 0xffff0000, v56
	v_and_b32_e32 v33, 0xffff0000, v57
	v_cmp_o_f32_e64 s[12:13], v35, v35
	;; [unrolled: 4-line block ×5, first 2 shown]
	v_cmp_o_f32_e64 s[26:27], v40, v40
	v_cmp_o_f32_e64 s[28:29], v29, v29
	v_lshlrev_b32_e32 v38, 16, v24
	v_and_b32_e32 v24, 0xffff0000, v24
	v_lshlrev_b32_e32 v50, 16, v26
	v_and_b32_e32 v26, 0xffff0000, v26
	v_cndmask_b32_e64 v21, v16, v4, s[28:29]
	v_cndmask_b32_e64 v20, v16, v1, s[6:7]
	v_cndmask_b32_e32 v23, v16, v45, vcc
	v_cndmask_b32_e64 v22, v16, v44, s[0:1]
	v_cndmask_b32_e64 v29, v16, v49, s[2:3]
	;; [unrolled: 1-line block ×13, first 2 shown]
	v_pk_mul_f32 v[20:21], v[20:21], v[38:39]
	v_pk_mul_f32 v[22:23], v[22:23], v[24:25]
	;; [unrolled: 1-line block ×8, first 2 shown]
	v_bfe_u32 v4, v20, 16, 1
	v_bfe_u32 v36, v23, 16, 1
	;; [unrolled: 1-line block ×16, first 2 shown]
	v_add3_u32 v4, v20, v4, s46
	v_add3_u32 v37, v22, v37, s46
	;; [unrolled: 1-line block ×16, first 2 shown]
	v_lshrrev_b32_e32 v4, 16, v4
	v_cmp_o_f32_e32 vcc, v20, v20
	v_lshrrev_b32_e32 v20, 16, v36
	v_lshrrev_b32_e32 v36, 16, v37
	v_cmp_o_f32_e64 s[0:1], v23, v23
	v_cmp_o_f32_e64 s[2:3], v22, v22
	v_lshrrev_b32_e32 v22, 16, v38
	v_lshrrev_b32_e32 v23, 16, v39
	v_cmp_o_f32_e64 s[4:5], v25, v25
	v_cmp_o_f32_e64 s[6:7], v24, v24
	v_lshrrev_b32_e32 v25, 16, v41
	v_cmp_o_f32_e64 s[8:9], v29, v29
	v_cmp_o_f32_e64 s[10:11], v28, v28
	v_lshrrev_b32_e32 v28, 16, v42
	v_lshrrev_b32_e32 v29, 16, v43
	v_cmp_o_f32_e64 s[12:13], v31, v31
	v_cmp_o_f32_e64 s[14:15], v30, v30
	v_lshrrev_b32_e32 v30, 16, v44
	;; [unrolled: 4-line block ×3, first 2 shown]
	v_cmp_o_f32_e64 s[20:21], v33, v33
	v_cmp_o_f32_e64 s[22:23], v32, v32
	v_lshrrev_b32_e32 v33, 16, v49
	v_cmp_o_f32_e64 s[26:27], v34, v34
	v_lshrrev_b32_e32 v1, 16, v1
	v_lshrrev_b32_e32 v24, 16, v40
	;; [unrolled: 1-line block ×4, first 2 shown]
	v_cmp_o_f32_e64 s[24:25], v35, v35
	v_cmp_o_f32_e64 s[28:29], v21, v21
	v_cndmask_b32_e32 v4, v17, v4, vcc
	v_cndmask_b32_e64 v34, v17, v20, s[0:1]
	v_cndmask_b32_e64 v20, v17, v36, s[2:3]
	;; [unrolled: 1-line block ×15, first 2 shown]
	v_perm_b32 v21, v22, v21, s47
	v_perm_b32 v20, v20, v4, s47
	;; [unrolled: 1-line block ×8, first 2 shown]
	global_store_dwordx4 v[8:9], v[20:23], off
	global_store_dwordx4 v[10:11], v[24:27], off
	s_andn2_b64 exec, exec, s[40:41]
	s_cbranch_execnz .LBB11_29
; %bb.30:
	s_or_b64 exec, exec, s[40:41]
	v_cmp_ne_u32_e32 vcc, v12, v13
	v_add_u32_e32 v0, v0, v13
	s_orn2_b64 s[0:1], vcc, exec
.LBB11_31:
	s_or_b64 exec, exec, s[38:39]
	s_and_b64 exec, exec, s[0:1]
	s_cbranch_execz .LBB11_34
; %bb.32:
	s_lshl_b32 s16, s33, 4
	s_add_u32 s1, s36, s30
	s_addc_u32 s2, s37, s31
	s_add_u32 s17, s1, 8
	s_addc_u32 s1, s2, 0
	s_add_u32 s18, s34, 8
	s_mov_b32 s0, 0
	v_mov_b32_e32 v1, 0
	s_addc_u32 s2, s35, 0
	s_waitcnt lgkmcnt(0)
	v_mov_b32_e32 v3, v2
	v_lshlrev_b64 v[4:5], 4, v[0:1]
	s_mov_b64 s[14:15], 0
	v_mov_b32_e32 v1, s1
	v_mov_b32_e32 v14, s2
	;; [unrolled: 1-line block ×5, first 2 shown]
	s_movk_i32 s19, 0x7fff
	v_mov_b32_e32 v16, 0x7fc00000
	v_mov_b32_e32 v17, 0x7fc0
	s_mov_b32 s20, 0x5040100
	v_mov_b32_e32 v18, s0
.LBB11_33:                              ; =>This Inner Loop Header: Depth=1
	v_add_co_u32_e32 v10, vcc, s17, v4
	v_addc_co_u32_e32 v11, vcc, v1, v5, vcc
	v_add_co_u32_e32 v12, vcc, s18, v4
	v_addc_co_u32_e32 v13, vcc, v14, v5, vcc
	global_load_dwordx4 v[20:23], v[10:11], off offset:-8
	global_load_dwordx4 v[24:27], v[12:13], off offset:-8
	v_add_co_u32_e32 v8, vcc, s44, v4
	v_addc_co_u32_e32 v9, vcc, v15, v5, vcc
	v_add_co_u32_e32 v4, vcc, s16, v4
	v_add_u32_e32 v0, s33, v0
	v_addc_co_u32_e32 v5, vcc, v5, v18, vcc
	v_cmp_le_i32_e32 vcc, s43, v0
	s_or_b64 s[14:15], vcc, s[14:15]
	s_waitcnt vmcnt(1)
	v_and_b32_e32 v11, 0xffff0000, v21
	v_lshlrev_b32_e32 v10, 16, v21
	v_and_b32_e32 v13, 0xffff0000, v20
	v_lshlrev_b32_e32 v12, 16, v20
	;; [unrolled: 2-line block ×4, first 2 shown]
	v_pk_mul_f32 v[12:13], v[2:3], v[12:13]
	v_pk_mul_f32 v[10:11], v[6:7], v[10:11]
	;; [unrolled: 1-line block ×4, first 2 shown]
	v_bfe_u32 v19, v12, 16, 1
	v_bfe_u32 v32, v13, 16, 1
	;; [unrolled: 1-line block ×8, first 2 shown]
	v_add3_u32 v34, v11, v34, s19
	v_add3_u32 v33, v10, v33, s19
	;; [unrolled: 1-line block ×8, first 2 shown]
	v_and_b32_e32 v19, 0xffff0000, v19
	v_and_b32_e32 v32, 0xffff0000, v32
	;; [unrolled: 1-line block ×4, first 2 shown]
	v_cmp_o_f32_e32 vcc, v10, v10
	v_cmp_o_f32_e64 s[0:1], v13, v13
	v_cmp_o_f32_e64 s[2:3], v12, v12
	v_and_b32_e32 v35, 0xffff0000, v35
	v_and_b32_e32 v36, 0xffff0000, v36
	;; [unrolled: 1-line block ×4, first 2 shown]
	v_cmp_o_f32_e64 s[4:5], v29, v29
	v_cmp_o_f32_e64 s[6:7], v28, v28
	;; [unrolled: 1-line block ×5, first 2 shown]
	s_waitcnt vmcnt(0)
	v_and_b32_e32 v21, 0xffff0000, v25
	v_lshlrev_b32_e32 v20, 16, v25
	v_and_b32_e32 v25, 0xffff0000, v24
	v_lshlrev_b32_e32 v24, 16, v24
	;; [unrolled: 2-line block ×4, first 2 shown]
	v_cndmask_b32_e64 v11, v16, v34, s[12:13]
	v_cndmask_b32_e32 v10, v16, v33, vcc
	v_cndmask_b32_e64 v13, v16, v32, s[0:1]
	v_cndmask_b32_e64 v12, v16, v19, s[2:3]
	;; [unrolled: 1-line block ×6, first 2 shown]
	v_pk_mul_f32 v[12:13], v[12:13], v[24:25]
	v_pk_mul_f32 v[10:11], v[10:11], v[20:21]
	;; [unrolled: 1-line block ×4, first 2 shown]
	v_bfe_u32 v19, v12, 16, 1
	v_bfe_u32 v24, v13, 16, 1
	;; [unrolled: 1-line block ×8, first 2 shown]
	v_add3_u32 v26, v11, v26, s19
	v_add3_u32 v25, v10, v25, s19
	;; [unrolled: 1-line block ×8, first 2 shown]
	v_lshrrev_b32_e32 v19, 16, v19
	v_lshrrev_b32_e32 v24, 16, v24
	;; [unrolled: 1-line block ×4, first 2 shown]
	v_cmp_o_f32_e32 vcc, v13, v13
	v_cmp_o_f32_e64 s[0:1], v10, v10
	v_cmp_o_f32_e64 s[2:3], v11, v11
	v_lshrrev_b32_e32 v10, 16, v27
	v_lshrrev_b32_e32 v11, 16, v28
	;; [unrolled: 1-line block ×4, first 2 shown]
	v_cmp_o_f32_e64 s[4:5], v20, v20
	v_cmp_o_f32_e64 s[6:7], v21, v21
	;; [unrolled: 1-line block ×5, first 2 shown]
	v_cndmask_b32_e64 v19, v17, v19, s[12:13]
	v_cndmask_b32_e32 v20, v17, v24, vcc
	v_cndmask_b32_e64 v21, v17, v25, s[0:1]
	v_cndmask_b32_e64 v22, v17, v26, s[2:3]
	;; [unrolled: 1-line block ×6, first 2 shown]
	v_perm_b32 v13, v13, v12, s20
	v_perm_b32 v12, v11, v10, s20
	;; [unrolled: 1-line block ×4, first 2 shown]
	global_store_dwordx4 v[8:9], v[10:13], off
	s_andn2_b64 exec, exec, s[14:15]
	s_cbranch_execnz .LBB11_33
.LBB11_34:
	s_endpgm
	.section	.rodata,"a",@progbits
	.p2align	6, 0x0
	.amdhsa_kernel _ZN4vllm15rms_norm_kernelIN3c108BFloat16ELi8ELi2EEEvPT_PKS3_lllllS6_fii
		.amdhsa_group_segment_fixed_size 68
		.amdhsa_private_segment_fixed_size 0
		.amdhsa_kernarg_size 336
		.amdhsa_user_sgpr_count 6
		.amdhsa_user_sgpr_private_segment_buffer 1
		.amdhsa_user_sgpr_dispatch_ptr 0
		.amdhsa_user_sgpr_queue_ptr 0
		.amdhsa_user_sgpr_kernarg_segment_ptr 1
		.amdhsa_user_sgpr_dispatch_id 0
		.amdhsa_user_sgpr_flat_scratch_init 0
		.amdhsa_user_sgpr_kernarg_preload_length 0
		.amdhsa_user_sgpr_kernarg_preload_offset 0
		.amdhsa_user_sgpr_private_segment_size 0
		.amdhsa_uses_dynamic_stack 0
		.amdhsa_system_sgpr_private_segment_wavefront_offset 0
		.amdhsa_system_sgpr_workgroup_id_x 1
		.amdhsa_system_sgpr_workgroup_id_y 0
		.amdhsa_system_sgpr_workgroup_id_z 0
		.amdhsa_system_sgpr_workgroup_info 0
		.amdhsa_system_vgpr_workitem_id 0
		.amdhsa_next_free_vgpr 62
		.amdhsa_next_free_sgpr 48
		.amdhsa_accum_offset 64
		.amdhsa_reserve_vcc 1
		.amdhsa_reserve_flat_scratch 0
		.amdhsa_float_round_mode_32 0
		.amdhsa_float_round_mode_16_64 0
		.amdhsa_float_denorm_mode_32 3
		.amdhsa_float_denorm_mode_16_64 3
		.amdhsa_dx10_clamp 1
		.amdhsa_ieee_mode 1
		.amdhsa_fp16_overflow 0
		.amdhsa_tg_split 0
		.amdhsa_exception_fp_ieee_invalid_op 0
		.amdhsa_exception_fp_denorm_src 0
		.amdhsa_exception_fp_ieee_div_zero 0
		.amdhsa_exception_fp_ieee_overflow 0
		.amdhsa_exception_fp_ieee_underflow 0
		.amdhsa_exception_fp_ieee_inexact 0
		.amdhsa_exception_int_div_zero 0
	.end_amdhsa_kernel
	.section	.text._ZN4vllm15rms_norm_kernelIN3c108BFloat16ELi8ELi2EEEvPT_PKS3_lllllS6_fii,"axG",@progbits,_ZN4vllm15rms_norm_kernelIN3c108BFloat16ELi8ELi2EEEvPT_PKS3_lllllS6_fii,comdat
.Lfunc_end11:
	.size	_ZN4vllm15rms_norm_kernelIN3c108BFloat16ELi8ELi2EEEvPT_PKS3_lllllS6_fii, .Lfunc_end11-_ZN4vllm15rms_norm_kernelIN3c108BFloat16ELi8ELi2EEEvPT_PKS3_lllllS6_fii
                                        ; -- End function
	.section	.AMDGPU.csdata,"",@progbits
; Kernel info:
; codeLenInByte = 4808
; NumSgprs: 52
; NumVgprs: 62
; NumAgprs: 0
; TotalNumVgprs: 62
; ScratchSize: 0
; MemoryBound: 0
; FloatMode: 240
; IeeeMode: 1
; LDSByteSize: 68 bytes/workgroup (compile time only)
; SGPRBlocks: 6
; VGPRBlocks: 7
; NumSGPRsForWavesPerEU: 52
; NumVGPRsForWavesPerEU: 62
; AccumOffset: 64
; Occupancy: 8
; WaveLimiterHint : 0
; COMPUTE_PGM_RSRC2:SCRATCH_EN: 0
; COMPUTE_PGM_RSRC2:USER_SGPR: 6
; COMPUTE_PGM_RSRC2:TRAP_HANDLER: 0
; COMPUTE_PGM_RSRC2:TGID_X_EN: 1
; COMPUTE_PGM_RSRC2:TGID_Y_EN: 0
; COMPUTE_PGM_RSRC2:TGID_Z_EN: 0
; COMPUTE_PGM_RSRC2:TIDIG_COMP_CNT: 0
; COMPUTE_PGM_RSRC3_GFX90A:ACCUM_OFFSET: 15
; COMPUTE_PGM_RSRC3_GFX90A:TG_SPLIT: 0
	.section	.text._ZN4vllm15rms_norm_kernelIN3c108BFloat16ELi4ELi2EEEvPT_PKS3_lllllS6_fii,"axG",@progbits,_ZN4vllm15rms_norm_kernelIN3c108BFloat16ELi4ELi2EEEvPT_PKS3_lllllS6_fii,comdat
	.protected	_ZN4vllm15rms_norm_kernelIN3c108BFloat16ELi4ELi2EEEvPT_PKS3_lllllS6_fii ; -- Begin function _ZN4vllm15rms_norm_kernelIN3c108BFloat16ELi4ELi2EEEvPT_PKS3_lllllS6_fii
	.globl	_ZN4vllm15rms_norm_kernelIN3c108BFloat16ELi4ELi2EEEvPT_PKS3_lllllS6_fii
	.p2align	8
	.type	_ZN4vllm15rms_norm_kernelIN3c108BFloat16ELi4ELi2EEEvPT_PKS3_lllllS6_fii,@function
_ZN4vllm15rms_norm_kernelIN3c108BFloat16ELi4ELi2EEEvPT_PKS3_lllllS6_fii: ; @_ZN4vllm15rms_norm_kernelIN3c108BFloat16ELi4ELi2EEEvPT_PKS3_lllllS6_fii
; %bb.0:
	s_load_dwordx4 s[0:3], s[4:5], 0x8
	s_load_dword s16, s[4:5], 0x48
	s_load_dword s8, s[4:5], 0x5c
	s_mov_b32 s9, 0
	s_waitcnt lgkmcnt(0)
	s_mul_i32 s3, s6, s3
	s_mul_hi_u32 s7, s6, s2
	s_add_i32 s3, s7, s3
	s_mul_i32 s2, s6, s2
	s_lshl_b64 s[2:3], s[2:3], 1
	s_add_u32 s7, s0, s2
	s_addc_u32 s15, s1, s3
	s_and_b32 s14, s8, 0xffff
	s_and_b32 s8, s7, 7
	s_cmp_lg_u64 s[8:9], 0
	s_cselect_b64 s[8:9], -1, 0
	s_and_b32 s10, s16, 3
	s_cmp_lg_u32 s10, 0
	s_cselect_b64 s[10:11], -1, 0
	s_or_b64 s[8:9], s[8:9], s[10:11]
	s_and_b64 vcc, exec, s[8:9]
	s_cbranch_vccz .LBB12_14
; %bb.1:
	s_sub_i32 s8, 0, s7
	s_bfe_u32 s8, s8, 0x20001
	s_min_i32 s8, s8, s16
	v_cmp_gt_i32_e32 vcc, s8, v0
	v_mov_b32_e32 v1, 0
	s_and_saveexec_b64 s[10:11], vcc
	s_cbranch_execz .LBB12_5
; %bb.2:
	s_add_u32 s9, s0, s2
	v_lshlrev_b32_e32 v1, 1, v0
	s_addc_u32 s12, s1, s3
	s_mov_b32 s17, 0
	v_mov_b32_e32 v3, s12
	v_add_co_u32_e32 v2, vcc, s9, v1
	v_addc_co_u32_e32 v3, vcc, 0, v3, vcc
	s_lshl_b32 s9, s14, 1
	s_mov_b64 s[12:13], 0
	v_mov_b32_e32 v1, 0
	v_mov_b32_e32 v4, s17
	;; [unrolled: 1-line block ×3, first 2 shown]
.LBB12_3:                               ; =>This Inner Loop Header: Depth=1
	global_load_ushort v6, v[2:3], off
	v_add_co_u32_e32 v2, vcc, s9, v2
	v_add_u32_e32 v5, s14, v5
	v_addc_co_u32_e32 v3, vcc, v3, v4, vcc
	v_cmp_le_i32_e32 vcc, s8, v5
	s_or_b64 s[12:13], vcc, s[12:13]
	s_waitcnt vmcnt(0)
	v_lshlrev_b32_e32 v6, 16, v6
	v_fmac_f32_e32 v1, v6, v6
	s_andn2_b64 exec, exec, s[12:13]
	s_cbranch_execnz .LBB12_3
; %bb.4:
	s_or_b64 exec, exec, s[12:13]
.LBB12_5:
	s_or_b64 exec, exec, s[10:11]
	s_sub_i32 s17, s16, s8
	s_ashr_i32 s10, s17, 31
	s_lshr_b32 s10, s10, 30
	s_add_i32 s10, s17, s10
	s_ashr_i32 s18, s10, 2
	s_ashr_i32 s9, s8, 31
	v_cmp_gt_i32_e32 vcc, s18, v0
	s_and_saveexec_b64 s[10:11], vcc
	s_cbranch_execz .LBB12_9
; %bb.6:
	s_lshl_b64 s[12:13], s[8:9], 1
	s_add_u32 s12, s0, s12
	s_addc_u32 s13, s1, s13
	s_add_u32 s12, s12, s2
	v_lshlrev_b32_e32 v2, 3, v0
	s_addc_u32 s13, s13, s3
	v_mov_b32_e32 v3, s13
	v_add_co_u32_e32 v2, vcc, s12, v2
	v_addc_co_u32_e32 v3, vcc, 0, v3, vcc
	s_mov_b32 s20, 0
	v_add_co_u32_e32 v2, vcc, 4, v2
	v_addc_co_u32_e32 v3, vcc, 0, v3, vcc
	s_lshl_b32 s19, s14, 3
	s_mov_b64 s[12:13], 0
	v_mov_b32_e32 v4, s20
	v_mov_b32_e32 v5, v0
.LBB12_7:                               ; =>This Inner Loop Header: Depth=1
	global_load_dwordx2 v[6:7], v[2:3], off offset:-4
	v_add_co_u32_e32 v2, vcc, s19, v2
	v_add_u32_e32 v5, s14, v5
	v_addc_co_u32_e32 v3, vcc, v3, v4, vcc
	v_cmp_le_i32_e32 vcc, s18, v5
	s_or_b64 s[12:13], vcc, s[12:13]
	s_waitcnt vmcnt(0)
	v_and_b32_e32 v9, 0xffff0000, v6
	v_lshlrev_b32_e32 v8, 16, v6
	v_and_b32_e32 v11, 0xffff0000, v7
	v_lshlrev_b32_e32 v10, 16, v7
	v_pk_mul_f32 v[6:7], v[8:9], v[8:9]
	v_add_f32_e32 v1, v1, v6
	v_pk_mul_f32 v[8:9], v[10:11], v[10:11]
	v_add_f32_e32 v1, v1, v7
	v_add_f32_e32 v1, v1, v8
	;; [unrolled: 1-line block ×3, first 2 shown]
	s_andn2_b64 exec, exec, s[12:13]
	s_cbranch_execnz .LBB12_7
; %bb.8:
	s_or_b64 exec, exec, s[12:13]
.LBB12_9:
	s_or_b64 exec, exec, s[10:11]
	v_lshl_add_u32 v2, s18, 2, v0
	v_cmp_gt_i32_e32 vcc, s17, v2
	s_and_saveexec_b64 s[10:11], vcc
	s_cbranch_execz .LBB12_13
; %bb.10:
	s_lshl_b64 s[8:9], s[8:9], 1
	s_add_u32 s8, s2, s8
	s_addc_u32 s9, s3, s9
	v_ashrrev_i32_e32 v3, 31, v2
	s_add_u32 s8, s0, s8
	v_lshlrev_b64 v[4:5], 1, v[2:3]
	s_addc_u32 s9, s1, s9
	v_mov_b32_e32 v3, s9
	v_add_co_u32_e32 v4, vcc, s8, v4
	s_mov_b32 s13, 0
	v_addc_co_u32_e32 v5, vcc, v3, v5, vcc
	s_lshl_b32 s12, s14, 1
	s_mov_b64 s[8:9], 0
	v_mov_b32_e32 v3, s13
.LBB12_11:                              ; =>This Inner Loop Header: Depth=1
	global_load_ushort v6, v[4:5], off
	v_add_co_u32_e32 v4, vcc, s12, v4
	v_add_u32_e32 v2, s14, v2
	v_addc_co_u32_e32 v5, vcc, v5, v3, vcc
	v_cmp_le_i32_e32 vcc, s17, v2
	s_or_b64 s[8:9], vcc, s[8:9]
	s_waitcnt vmcnt(0)
	v_lshlrev_b32_e32 v6, 16, v6
	v_fmac_f32_e32 v1, v6, v6
	s_andn2_b64 exec, exec, s[8:9]
	s_cbranch_execnz .LBB12_11
; %bb.12:
	s_or_b64 exec, exec, s[8:9]
.LBB12_13:
	s_or_b64 exec, exec, s[10:11]
	s_branch .LBB12_20
.LBB12_14:
                                        ; implicit-def: $vgpr1
	s_cbranch_execz .LBB12_20
; %bb.15:
	s_ashr_i32 s10, s16, 2
	v_cmp_gt_i32_e32 vcc, s10, v0
	v_mov_b32_e32 v1, 0
	s_and_saveexec_b64 s[8:9], vcc
	s_cbranch_execz .LBB12_19
; %bb.16:
	s_add_u32 s0, s0, s2
	v_lshlrev_b32_e32 v1, 3, v0
	s_addc_u32 s1, s1, s3
	s_mov_b32 s11, 0
	v_mov_b32_e32 v3, s1
	v_add_co_u32_e32 v2, vcc, s0, v1
	v_addc_co_u32_e32 v3, vcc, 0, v3, vcc
	s_lshl_b32 s2, s14, 3
	s_mov_b64 s[0:1], 0
	v_mov_b32_e32 v1, 0
	v_mov_b32_e32 v4, s11
	;; [unrolled: 1-line block ×3, first 2 shown]
.LBB12_17:                              ; =>This Inner Loop Header: Depth=1
	global_load_dwordx2 v[6:7], v[2:3], off
	v_add_co_u32_e32 v2, vcc, s2, v2
	v_add_u32_e32 v5, s14, v5
	v_addc_co_u32_e32 v3, vcc, v3, v4, vcc
	v_cmp_le_i32_e32 vcc, s10, v5
	s_or_b64 s[0:1], vcc, s[0:1]
	s_waitcnt vmcnt(0)
	v_lshlrev_b32_e32 v9, 16, v6
	v_and_b32_e32 v8, 0xffff0000, v6
	v_alignbit_b32 v6, v7, v6, 16
	v_fmac_f32_e32 v1, v9, v9
	v_and_b32_e32 v6, 0xffff0000, v6
	v_fmac_f32_e32 v1, v8, v8
	v_and_b32_e32 v7, 0xffff0000, v7
	v_fmac_f32_e32 v1, v6, v6
	v_fmac_f32_e32 v1, v7, v7
	s_andn2_b64 exec, exec, s[0:1]
	s_cbranch_execnz .LBB12_17
; %bb.18:
	s_or_b64 exec, exec, s[0:1]
.LBB12_19:
	s_or_b64 exec, exec, s[8:9]
.LBB12_20:
	v_mbcnt_lo_u32_b32 v2, -1, 0
	v_mbcnt_hi_u32_b32 v2, -1, v2
	v_and_b32_e32 v3, 63, v2
	v_cmp_ne_u32_e32 vcc, 63, v3
	v_addc_co_u32_e32 v4, vcc, 0, v2, vcc
	v_lshlrev_b32_e32 v4, 2, v4
	ds_bpermute_b32 v4, v4, v1
	v_and_b32_e32 v5, 0x3c0, v0
	v_sub_u32_e64 v5, s14, v5 clamp
	v_add_u32_e32 v6, 1, v2
	v_cmp_lt_u32_e32 vcc, v6, v5
	s_waitcnt lgkmcnt(0)
	v_add_f32_e32 v4, v1, v4
	v_cndmask_b32_e32 v1, v1, v4, vcc
	v_cmp_gt_u32_e32 vcc, 62, v3
	v_cndmask_b32_e64 v4, 0, 1, vcc
	v_lshlrev_b32_e32 v4, 1, v4
	v_add_lshl_u32 v4, v4, v2, 2
	ds_bpermute_b32 v4, v4, v1
	v_add_u32_e32 v6, 2, v2
	v_cmp_lt_u32_e32 vcc, v6, v5
	v_add_u32_e32 v6, 4, v2
	s_waitcnt lgkmcnt(0)
	v_add_f32_e32 v4, v1, v4
	v_cndmask_b32_e32 v1, v1, v4, vcc
	v_cmp_gt_u32_e32 vcc, 60, v3
	v_cndmask_b32_e64 v4, 0, 1, vcc
	v_lshlrev_b32_e32 v4, 2, v4
	v_add_lshl_u32 v4, v4, v2, 2
	ds_bpermute_b32 v4, v4, v1
	v_cmp_lt_u32_e32 vcc, v6, v5
	v_add_u32_e32 v6, 8, v2
	s_waitcnt lgkmcnt(0)
	v_add_f32_e32 v4, v1, v4
	v_cndmask_b32_e32 v1, v1, v4, vcc
	v_cmp_gt_u32_e32 vcc, 56, v3
	v_cndmask_b32_e64 v4, 0, 1, vcc
	v_lshlrev_b32_e32 v4, 3, v4
	v_add_lshl_u32 v4, v4, v2, 2
	ds_bpermute_b32 v4, v4, v1
	;; [unrolled: 10-line block ×3, first 2 shown]
	v_cmp_lt_u32_e32 vcc, v6, v5
	s_waitcnt lgkmcnt(0)
	v_add_f32_e32 v4, v1, v4
	v_cndmask_b32_e32 v1, v1, v4, vcc
	v_cmp_gt_u32_e32 vcc, 32, v3
	v_cndmask_b32_e64 v3, 0, 1, vcc
	v_lshlrev_b32_e32 v3, 5, v3
	v_add_lshl_u32 v3, v3, v2, 2
	ds_bpermute_b32 v3, v3, v1
	v_add_u32_e32 v4, 32, v2
	v_cmp_lt_u32_e32 vcc, v4, v5
	s_waitcnt lgkmcnt(0)
	v_add_f32_e32 v3, v1, v3
	v_cndmask_b32_e32 v1, v1, v3, vcc
	v_cmp_eq_u32_e32 vcc, 0, v2
	s_and_saveexec_b64 s[0:1], vcc
	s_cbranch_execz .LBB12_22
; %bb.21:
	v_lshrrev_b32_e32 v3, 4, v0
	v_and_b32_e32 v3, 60, v3
	ds_write_b32 v3, v1
.LBB12_22:
	s_or_b64 exec, exec, s[0:1]
	v_cmp_gt_u32_e32 vcc, 16, v0
	s_waitcnt lgkmcnt(0)
	s_barrier
	s_and_saveexec_b64 s[2:3], vcc
	s_cbranch_execz .LBB12_24
; %bb.23:
	v_lshlrev_b32_e32 v1, 2, v2
	ds_read_b32 v1, v1
	v_and_b32_e32 v3, 15, v2
	v_cmp_ne_u32_e32 vcc, 15, v3
	v_addc_co_u32_e32 v4, vcc, 0, v2, vcc
	v_lshlrev_b32_e32 v4, 2, v4
	s_waitcnt lgkmcnt(0)
	ds_bpermute_b32 v4, v4, v1
	s_add_i32 s0, s14, 63
	s_lshr_b32 s8, s0, 6
	v_add_u32_e32 v5, 1, v3
	v_cmp_gt_u32_e64 s[0:1], 14, v3
	v_cmp_gt_u32_e32 vcc, s8, v5
	v_cndmask_b32_e64 v5, 0, 1, s[0:1]
	s_waitcnt lgkmcnt(0)
	v_add_f32_e32 v4, v1, v4
	v_lshlrev_b32_e32 v5, 1, v5
	v_cndmask_b32_e32 v4, v1, v4, vcc
	v_add_lshl_u32 v5, v5, v2, 2
	ds_bpermute_b32 v5, v5, v4
	v_add_u32_e32 v6, 2, v3
	v_cmp_gt_u32_e64 s[0:1], s8, v6
	v_add_u32_e32 v6, 4, v3
	s_waitcnt lgkmcnt(0)
	v_add_f32_e32 v5, v4, v5
	v_cndmask_b32_e64 v4, v4, v5, s[0:1]
	v_cmp_gt_u32_e64 s[0:1], 12, v3
	v_cndmask_b32_e64 v5, 0, 1, s[0:1]
	v_lshlrev_b32_e32 v5, 2, v5
	v_add_lshl_u32 v5, v5, v2, 2
	ds_bpermute_b32 v5, v5, v4
	v_cmp_gt_u32_e64 s[0:1], s8, v6
	s_waitcnt lgkmcnt(0)
	v_add_f32_e32 v5, v4, v5
	v_cndmask_b32_e64 v4, v4, v5, s[0:1]
	v_cmp_gt_u32_e64 s[0:1], 8, v3
	v_cndmask_b32_e64 v5, 0, 1, s[0:1]
	v_lshlrev_b32_e32 v5, 3, v5
	v_add_lshl_u32 v2, v5, v2, 2
	ds_bpermute_b32 v2, v2, v4
	v_add_u32_e32 v3, 8, v3
	v_cmp_gt_u32_e64 s[0:1], s8, v3
	s_waitcnt lgkmcnt(0)
	v_add_f32_e32 v2, v4, v2
	v_cndmask_b32_e64 v2, v4, v2, s[0:1]
	v_cndmask_b32_e32 v1, v1, v2, vcc
.LBB12_24:
	s_or_b64 exec, exec, s[2:3]
	v_cmp_eq_u32_e32 vcc, 0, v0
	s_and_saveexec_b64 s[0:1], vcc
	s_cbranch_execz .LBB12_26
; %bb.25:
	v_cvt_f32_i32_e32 v2, s16
	s_load_dword s8, s[4:5], 0x40
	v_div_scale_f32 v3, s[2:3], v2, v2, v1
	v_rcp_f32_e32 v4, v3
	v_div_scale_f32 v5, vcc, v1, v2, v1
	s_mov_b32 s2, 0x800000
	v_fma_f32 v6, -v3, v4, 1.0
	v_fmac_f32_e32 v4, v6, v4
	v_mul_f32_e32 v6, v5, v4
	v_fma_f32 v7, -v3, v6, v5
	v_fmac_f32_e32 v6, v7, v4
	v_fma_f32 v3, -v3, v6, v5
	v_div_fmas_f32 v3, v3, v4, v6
	v_div_fixup_f32 v1, v3, v2, v1
	s_waitcnt lgkmcnt(0)
	v_add_f32_e32 v1, s8, v1
	v_mul_f32_e32 v2, 0x4b800000, v1
	v_cmp_gt_f32_e32 vcc, s2, v1
	v_cndmask_b32_e32 v1, v1, v2, vcc
	v_rsq_f32_e32 v1, v1
	v_mul_f32_e32 v2, 0x45800000, v1
	v_cndmask_b32_e32 v1, v1, v2, vcc
	v_mov_b32_e32 v2, 0
	ds_write_b32 v2, v1 offset:64
.LBB12_26:
	s_or_b64 exec, exec, s[0:1]
	s_ashr_i32 s0, s16, 31
	s_lshr_b32 s0, s0, 30
	s_add_i32 s0, s16, s0
	s_ashr_i32 s8, s0, 2
	v_cmp_gt_i32_e32 vcc, s8, v0
	s_waitcnt lgkmcnt(0)
	s_barrier
	s_and_saveexec_b64 s[0:1], vcc
	s_cbranch_execz .LBB12_29
; %bb.27:
	s_load_dwordx2 s[0:1], s[4:5], 0x0
	s_load_dwordx2 s[2:3], s[4:5], 0x38
	v_mov_b32_e32 v1, 0
	ds_read_b32 v2, v1 offset:64
	s_mul_i32 s10, s6, s16
	s_mov_b32 s11, 0
	s_lshl_b64 s[4:5], s[10:11], 1
	s_waitcnt lgkmcnt(0)
	s_add_u32 s6, s0, s4
	s_addc_u32 s0, s1, s5
	v_mov_b32_e32 v3, v2
	v_lshlrev_b32_e32 v4, 3, v0
	s_lshl_b32 s9, s14, 3
	s_mov_b64 s[4:5], 0
	v_mov_b32_e32 v5, s15
	v_mov_b32_e32 v10, s3
	;; [unrolled: 1-line block ×5, first 2 shown]
	s_movk_i32 s3, 0x7fff
	v_mov_b32_e32 v12, 0x7fc00000
	v_mov_b32_e32 v13, 0x7fc0
	;; [unrolled: 1-line block ×3, first 2 shown]
.LBB12_28:                              ; =>This Inner Loop Header: Depth=1
	v_add_co_u32_e32 v8, vcc, s7, v4
	v_addc_co_u32_e32 v9, vcc, v5, v1, vcc
	v_add_co_u32_e32 v16, vcc, s2, v4
	v_addc_co_u32_e32 v17, vcc, v10, v1, vcc
	global_load_dwordx2 v[18:19], v[8:9], off
	global_load_dwordx2 v[20:21], v[16:17], off
	v_add_co_u32_e32 v8, vcc, s6, v4
	v_addc_co_u32_e32 v9, vcc, v11, v1, vcc
	v_add_co_u32_e32 v4, vcc, s9, v4
	v_add_u32_e32 v0, s14, v0
	v_addc_co_u32_e32 v1, vcc, v1, v14, vcc
	v_cmp_le_i32_e32 vcc, s8, v0
	s_or_b64 s[4:5], vcc, s[4:5]
	s_waitcnt vmcnt(1)
	v_alignbit_b32 v15, v19, v18, 16
	v_and_b32_e32 v16, 0xffff0000, v18
	v_lshlrev_b32_e32 v17, 16, v18
	v_and_b32_e32 v22, 0xffff0000, v19
	v_and_b32_e32 v23, 0xffff0000, v15
	v_pk_mul_f32 v[16:17], v[6:7], v[16:17]
	s_waitcnt vmcnt(0)
	v_alignbit_b32 v25, v21, v20, 16
	v_and_b32_e32 v18, 0xffff0000, v20
	v_and_b32_e32 v24, 0xffff0000, v21
	v_lshlrev_b32_e32 v19, 16, v20
	v_pk_mul_f32 v[20:21], v[2:3], v[22:23]
	v_bfe_u32 v15, v16, 16, 1
	v_bfe_u32 v22, v17, 16, 1
	;; [unrolled: 1-line block ×4, first 2 shown]
	v_add3_u32 v22, v17, v22, s3
	v_add3_u32 v15, v16, v15, s3
	;; [unrolled: 1-line block ×4, first 2 shown]
	v_and_b32_e32 v15, 0xffff0000, v15
	v_and_b32_e32 v22, 0xffff0000, v22
	v_cmp_o_f32_e32 vcc, v16, v16
	v_cmp_o_f32_e64 s[0:1], v17, v17
	v_and_b32_e32 v23, 0xffff0000, v23
	v_and_b32_e32 v26, 0xffff0000, v26
	v_cndmask_b32_e64 v17, v12, v22, s[0:1]
	v_cndmask_b32_e32 v16, v12, v15, vcc
	v_cmp_o_f32_e32 vcc, v20, v20
	v_cmp_o_f32_e64 s[0:1], v21, v21
	v_and_b32_e32 v25, 0xffff0000, v25
	v_cndmask_b32_e64 v21, v12, v26, s[0:1]
	v_cndmask_b32_e32 v20, v12, v23, vcc
	v_pk_mul_f32 v[16:17], v[16:17], v[18:19]
	v_pk_mul_f32 v[18:19], v[20:21], v[24:25]
	v_bfe_u32 v15, v17, 16, 1
	v_bfe_u32 v20, v16, 16, 1
	v_add3_u32 v15, v17, v15, s3
	v_add3_u32 v20, v16, v20, s3
	v_bfe_u32 v21, v19, 16, 1
	v_bfe_u32 v22, v18, 16, 1
	v_lshrrev_b32_e32 v15, 16, v15
	v_and_b32_e32 v20, 0xffff0000, v20
	v_add3_u32 v22, v18, v22, s3
	v_add3_u32 v21, v19, v21, s3
	v_cmp_o_f32_e32 vcc, v17, v17
	v_cmp_o_f32_e64 s[0:1], v16, v16
	v_lshrrev_b32_e32 v16, 16, v21
	v_and_b32_e32 v17, 0xffff0000, v22
	v_cndmask_b32_e64 v20, v12, v20, s[0:1]
	v_cmp_o_f32_e64 s[0:1], v19, v19
	v_cndmask_b32_e32 v15, v13, v15, vcc
	v_cmp_o_f32_e32 vcc, v18, v18
	v_cndmask_b32_e32 v17, v12, v17, vcc
	v_cndmask_b32_e64 v18, v13, v16, s[0:1]
	v_or3_b32 v16, 0, v20, v15
	v_or3_b32 v17, v17, 0, v18
	global_store_dwordx2 v[8:9], v[16:17], off
	s_andn2_b64 exec, exec, s[4:5]
	s_cbranch_execnz .LBB12_28
.LBB12_29:
	s_endpgm
	.section	.rodata,"a",@progbits
	.p2align	6, 0x0
	.amdhsa_kernel _ZN4vllm15rms_norm_kernelIN3c108BFloat16ELi4ELi2EEEvPT_PKS3_lllllS6_fii
		.amdhsa_group_segment_fixed_size 68
		.amdhsa_private_segment_fixed_size 0
		.amdhsa_kernarg_size 336
		.amdhsa_user_sgpr_count 6
		.amdhsa_user_sgpr_private_segment_buffer 1
		.amdhsa_user_sgpr_dispatch_ptr 0
		.amdhsa_user_sgpr_queue_ptr 0
		.amdhsa_user_sgpr_kernarg_segment_ptr 1
		.amdhsa_user_sgpr_dispatch_id 0
		.amdhsa_user_sgpr_flat_scratch_init 0
		.amdhsa_user_sgpr_kernarg_preload_length 0
		.amdhsa_user_sgpr_kernarg_preload_offset 0
		.amdhsa_user_sgpr_private_segment_size 0
		.amdhsa_uses_dynamic_stack 0
		.amdhsa_system_sgpr_private_segment_wavefront_offset 0
		.amdhsa_system_sgpr_workgroup_id_x 1
		.amdhsa_system_sgpr_workgroup_id_y 0
		.amdhsa_system_sgpr_workgroup_id_z 0
		.amdhsa_system_sgpr_workgroup_info 0
		.amdhsa_system_vgpr_workitem_id 0
		.amdhsa_next_free_vgpr 27
		.amdhsa_next_free_sgpr 21
		.amdhsa_accum_offset 28
		.amdhsa_reserve_vcc 1
		.amdhsa_reserve_flat_scratch 0
		.amdhsa_float_round_mode_32 0
		.amdhsa_float_round_mode_16_64 0
		.amdhsa_float_denorm_mode_32 3
		.amdhsa_float_denorm_mode_16_64 3
		.amdhsa_dx10_clamp 1
		.amdhsa_ieee_mode 1
		.amdhsa_fp16_overflow 0
		.amdhsa_tg_split 0
		.amdhsa_exception_fp_ieee_invalid_op 0
		.amdhsa_exception_fp_denorm_src 0
		.amdhsa_exception_fp_ieee_div_zero 0
		.amdhsa_exception_fp_ieee_overflow 0
		.amdhsa_exception_fp_ieee_underflow 0
		.amdhsa_exception_fp_ieee_inexact 0
		.amdhsa_exception_int_div_zero 0
	.end_amdhsa_kernel
	.section	.text._ZN4vllm15rms_norm_kernelIN3c108BFloat16ELi4ELi2EEEvPT_PKS3_lllllS6_fii,"axG",@progbits,_ZN4vllm15rms_norm_kernelIN3c108BFloat16ELi4ELi2EEEvPT_PKS3_lllllS6_fii,comdat
.Lfunc_end12:
	.size	_ZN4vllm15rms_norm_kernelIN3c108BFloat16ELi4ELi2EEEvPT_PKS3_lllllS6_fii, .Lfunc_end12-_ZN4vllm15rms_norm_kernelIN3c108BFloat16ELi4ELi2EEEvPT_PKS3_lllllS6_fii
                                        ; -- End function
	.section	.AMDGPU.csdata,"",@progbits
; Kernel info:
; codeLenInByte = 2208
; NumSgprs: 25
; NumVgprs: 27
; NumAgprs: 0
; TotalNumVgprs: 27
; ScratchSize: 0
; MemoryBound: 0
; FloatMode: 240
; IeeeMode: 1
; LDSByteSize: 68 bytes/workgroup (compile time only)
; SGPRBlocks: 3
; VGPRBlocks: 3
; NumSGPRsForWavesPerEU: 25
; NumVGPRsForWavesPerEU: 27
; AccumOffset: 28
; Occupancy: 8
; WaveLimiterHint : 0
; COMPUTE_PGM_RSRC2:SCRATCH_EN: 0
; COMPUTE_PGM_RSRC2:USER_SGPR: 6
; COMPUTE_PGM_RSRC2:TRAP_HANDLER: 0
; COMPUTE_PGM_RSRC2:TGID_X_EN: 1
; COMPUTE_PGM_RSRC2:TGID_Y_EN: 0
; COMPUTE_PGM_RSRC2:TGID_Z_EN: 0
; COMPUTE_PGM_RSRC2:TIDIG_COMP_CNT: 0
; COMPUTE_PGM_RSRC3_GFX90A:ACCUM_OFFSET: 6
; COMPUTE_PGM_RSRC3_GFX90A:TG_SPLIT: 0
	.section	.text._ZN4vllm15rms_norm_kernelIN3c108BFloat16ELi2ELi2EEEvPT_PKS3_lllllS6_fii,"axG",@progbits,_ZN4vllm15rms_norm_kernelIN3c108BFloat16ELi2ELi2EEEvPT_PKS3_lllllS6_fii,comdat
	.protected	_ZN4vllm15rms_norm_kernelIN3c108BFloat16ELi2ELi2EEEvPT_PKS3_lllllS6_fii ; -- Begin function _ZN4vllm15rms_norm_kernelIN3c108BFloat16ELi2ELi2EEEvPT_PKS3_lllllS6_fii
	.globl	_ZN4vllm15rms_norm_kernelIN3c108BFloat16ELi2ELi2EEEvPT_PKS3_lllllS6_fii
	.p2align	8
	.type	_ZN4vllm15rms_norm_kernelIN3c108BFloat16ELi2ELi2EEEvPT_PKS3_lllllS6_fii,@function
_ZN4vllm15rms_norm_kernelIN3c108BFloat16ELi2ELi2EEEvPT_PKS3_lllllS6_fii: ; @_ZN4vllm15rms_norm_kernelIN3c108BFloat16ELi2ELi2EEEvPT_PKS3_lllllS6_fii
; %bb.0:
	s_load_dwordx4 s[0:3], s[4:5], 0x8
	s_load_dword s7, s[4:5], 0x48
	s_load_dword s10, s[4:5], 0x5c
	s_mov_b32 s11, 0
	s_waitcnt lgkmcnt(0)
	s_mul_i32 s3, s6, s3
	s_mul_hi_u32 s8, s6, s2
	s_add_i32 s3, s8, s3
	s_mul_i32 s2, s6, s2
	s_lshl_b64 s[2:3], s[2:3], 1
	s_add_u32 s8, s0, s2
	s_addc_u32 s9, s1, s3
	s_and_b32 s16, s10, 0xffff
	s_and_b32 s10, s8, 3
	s_cmp_lg_u64 s[10:11], 0
	s_cselect_b64 s[10:11], -1, 0
	s_bitcmp1_b32 s7, 0
	s_cselect_b64 s[12:13], -1, 0
	s_or_b64 s[10:11], s[10:11], s[12:13]
	s_and_b64 vcc, exec, s[10:11]
	s_cbranch_vccz .LBB13_13
; %bb.1:
	s_sub_i32 s10, 0, s8
	s_bfe_u32 s10, s10, 0x10001
	s_min_i32 s10, s10, s7
	v_cmp_gt_i32_e32 vcc, s10, v0
	v_mov_b32_e32 v1, 0
	s_and_saveexec_b64 s[12:13], vcc
	s_cbranch_execz .LBB13_4
; %bb.2:
	s_lshl_b32 s11, s16, 1
	s_mov_b32 s17, 0
	v_mov_b32_e32 v2, 0
	s_mov_b64 s[14:15], s[8:9]
	v_mov_b32_e32 v1, 0
.LBB13_3:                               ; =>This Inner Loop Header: Depth=1
	global_load_ushort v3, v2, s[14:15]
	s_add_i32 s17, s17, s16
	s_add_u32 s14, s14, s11
	s_addc_u32 s15, s15, 0
	s_cmp_ge_i32 s17, s10
	s_waitcnt vmcnt(0)
	v_lshlrev_b32_e32 v3, 16, v3
	v_fmac_f32_e32 v1, v3, v3
	s_cbranch_scc0 .LBB13_3
.LBB13_4:
	s_or_b64 exec, exec, s[12:13]
	s_sub_i32 s17, s7, s10
	s_lshr_b32 s12, s17, 31
	s_add_i32 s12, s17, s12
	s_ashr_i32 s18, s12, 1
	s_ashr_i32 s11, s10, 31
	v_cmp_gt_i32_e32 vcc, s18, v0
	s_and_saveexec_b64 s[12:13], vcc
	s_cbranch_execz .LBB13_8
; %bb.5:
	s_lshl_b64 s[14:15], s[10:11], 1
	s_add_u32 s14, s0, s14
	s_addc_u32 s15, s1, s15
	s_add_u32 s14, s14, s2
	v_lshlrev_b32_e32 v2, 2, v0
	s_addc_u32 s15, s15, s3
	s_mov_b32 s20, 0
	v_mov_b32_e32 v3, s15
	v_add_co_u32_e32 v2, vcc, s14, v2
	v_addc_co_u32_e32 v3, vcc, 0, v3, vcc
	s_lshl_b32 s19, s16, 2
	s_mov_b64 s[14:15], 0
	v_mov_b32_e32 v4, s20
	v_mov_b32_e32 v5, v0
.LBB13_6:                               ; =>This Inner Loop Header: Depth=1
	global_load_dword v6, v[2:3], off
	v_add_co_u32_e32 v2, vcc, s19, v2
	v_add_u32_e32 v5, s16, v5
	v_addc_co_u32_e32 v3, vcc, v3, v4, vcc
	v_cmp_le_i32_e32 vcc, s18, v5
	s_or_b64 s[14:15], vcc, s[14:15]
	s_waitcnt vmcnt(0)
	v_and_b32_e32 v7, 0xffff0000, v6
	v_lshlrev_b32_e32 v6, 16, v6
	v_pk_mul_f32 v[6:7], v[6:7], v[6:7]
	v_add_f32_e32 v1, v1, v6
	v_add_f32_e32 v1, v1, v7
	s_andn2_b64 exec, exec, s[14:15]
	s_cbranch_execnz .LBB13_6
; %bb.7:
	s_or_b64 exec, exec, s[14:15]
.LBB13_8:
	s_or_b64 exec, exec, s[12:13]
	v_lshl_add_u32 v2, s18, 1, v0
	v_cmp_gt_i32_e32 vcc, s17, v2
	s_and_saveexec_b64 s[12:13], vcc
	s_cbranch_execz .LBB13_12
; %bb.9:
	s_lshl_b64 s[10:11], s[10:11], 1
	s_add_u32 s10, s2, s10
	s_addc_u32 s11, s3, s11
	v_ashrrev_i32_e32 v3, 31, v2
	s_add_u32 s10, s0, s10
	v_lshlrev_b64 v[4:5], 1, v[2:3]
	s_addc_u32 s11, s1, s11
	v_mov_b32_e32 v3, s11
	v_add_co_u32_e32 v4, vcc, s10, v4
	s_mov_b32 s15, 0
	v_addc_co_u32_e32 v5, vcc, v3, v5, vcc
	s_lshl_b32 s14, s16, 1
	s_mov_b64 s[10:11], 0
	v_mov_b32_e32 v3, s15
.LBB13_10:                              ; =>This Inner Loop Header: Depth=1
	global_load_ushort v6, v[4:5], off
	v_add_co_u32_e32 v4, vcc, s14, v4
	v_add_u32_e32 v2, s16, v2
	v_addc_co_u32_e32 v5, vcc, v5, v3, vcc
	v_cmp_le_i32_e32 vcc, s17, v2
	s_or_b64 s[10:11], vcc, s[10:11]
	s_waitcnt vmcnt(0)
	v_lshlrev_b32_e32 v6, 16, v6
	v_fmac_f32_e32 v1, v6, v6
	s_andn2_b64 exec, exec, s[10:11]
	s_cbranch_execnz .LBB13_10
; %bb.11:
	s_or_b64 exec, exec, s[10:11]
.LBB13_12:
	s_or_b64 exec, exec, s[12:13]
	s_branch .LBB13_19
.LBB13_13:
                                        ; implicit-def: $vgpr1
	s_cbranch_execz .LBB13_19
; %bb.14:
	s_ashr_i32 s12, s7, 1
	v_cmp_gt_i32_e32 vcc, s12, v0
	v_mov_b32_e32 v1, 0
	s_and_saveexec_b64 s[10:11], vcc
	s_cbranch_execz .LBB13_18
; %bb.15:
	s_add_u32 s0, s0, s2
	v_lshlrev_b32_e32 v1, 2, v0
	s_addc_u32 s1, s1, s3
	s_mov_b32 s13, 0
	v_mov_b32_e32 v3, s1
	v_add_co_u32_e32 v2, vcc, s0, v1
	v_addc_co_u32_e32 v3, vcc, 0, v3, vcc
	s_lshl_b32 s2, s16, 2
	s_mov_b64 s[0:1], 0
	v_mov_b32_e32 v1, 0
	v_mov_b32_e32 v4, s13
	;; [unrolled: 1-line block ×3, first 2 shown]
.LBB13_16:                              ; =>This Inner Loop Header: Depth=1
	global_load_dword v7, v[2:3], off
	v_add_co_u32_e32 v2, vcc, s2, v2
	v_add_u32_e32 v5, s16, v5
	v_addc_co_u32_e32 v3, vcc, v3, v4, vcc
	v_cmp_le_i32_e32 vcc, s12, v5
	s_or_b64 s[0:1], vcc, s[0:1]
	s_waitcnt vmcnt(0)
	v_and_b32_e32 v6, 0xffff0000, v7
	v_lshlrev_b32_e32 v7, 16, v7
	v_pk_mul_f32 v[6:7], v[6:7], v[6:7]
	v_add_f32_e32 v1, v1, v7
	v_add_f32_e32 v1, v6, v1
	s_andn2_b64 exec, exec, s[0:1]
	s_cbranch_execnz .LBB13_16
; %bb.17:
	s_or_b64 exec, exec, s[0:1]
.LBB13_18:
	s_or_b64 exec, exec, s[10:11]
.LBB13_19:
	v_mbcnt_lo_u32_b32 v2, -1, 0
	v_mbcnt_hi_u32_b32 v2, -1, v2
	v_and_b32_e32 v3, 63, v2
	v_cmp_ne_u32_e32 vcc, 63, v3
	v_addc_co_u32_e32 v4, vcc, 0, v2, vcc
	v_lshlrev_b32_e32 v4, 2, v4
	ds_bpermute_b32 v4, v4, v1
	v_and_b32_e32 v5, 0x3c0, v0
	v_sub_u32_e64 v5, s16, v5 clamp
	v_add_u32_e32 v6, 1, v2
	v_cmp_lt_u32_e32 vcc, v6, v5
	s_waitcnt lgkmcnt(0)
	v_add_f32_e32 v4, v1, v4
	v_cndmask_b32_e32 v1, v1, v4, vcc
	v_cmp_gt_u32_e32 vcc, 62, v3
	v_cndmask_b32_e64 v4, 0, 1, vcc
	v_lshlrev_b32_e32 v4, 1, v4
	v_add_lshl_u32 v4, v4, v2, 2
	ds_bpermute_b32 v4, v4, v1
	v_add_u32_e32 v6, 2, v2
	v_cmp_lt_u32_e32 vcc, v6, v5
	v_add_u32_e32 v6, 4, v2
	s_waitcnt lgkmcnt(0)
	v_add_f32_e32 v4, v1, v4
	v_cndmask_b32_e32 v1, v1, v4, vcc
	v_cmp_gt_u32_e32 vcc, 60, v3
	v_cndmask_b32_e64 v4, 0, 1, vcc
	v_lshlrev_b32_e32 v4, 2, v4
	v_add_lshl_u32 v4, v4, v2, 2
	ds_bpermute_b32 v4, v4, v1
	v_cmp_lt_u32_e32 vcc, v6, v5
	v_add_u32_e32 v6, 8, v2
	s_waitcnt lgkmcnt(0)
	v_add_f32_e32 v4, v1, v4
	v_cndmask_b32_e32 v1, v1, v4, vcc
	v_cmp_gt_u32_e32 vcc, 56, v3
	v_cndmask_b32_e64 v4, 0, 1, vcc
	v_lshlrev_b32_e32 v4, 3, v4
	v_add_lshl_u32 v4, v4, v2, 2
	ds_bpermute_b32 v4, v4, v1
	;; [unrolled: 10-line block ×3, first 2 shown]
	v_cmp_lt_u32_e32 vcc, v6, v5
	s_waitcnt lgkmcnt(0)
	v_add_f32_e32 v4, v1, v4
	v_cndmask_b32_e32 v1, v1, v4, vcc
	v_cmp_gt_u32_e32 vcc, 32, v3
	v_cndmask_b32_e64 v3, 0, 1, vcc
	v_lshlrev_b32_e32 v3, 5, v3
	v_add_lshl_u32 v3, v3, v2, 2
	ds_bpermute_b32 v3, v3, v1
	v_add_u32_e32 v4, 32, v2
	v_cmp_lt_u32_e32 vcc, v4, v5
	s_waitcnt lgkmcnt(0)
	v_add_f32_e32 v3, v1, v3
	v_cndmask_b32_e32 v1, v1, v3, vcc
	v_cmp_eq_u32_e32 vcc, 0, v2
	s_and_saveexec_b64 s[0:1], vcc
	s_cbranch_execz .LBB13_21
; %bb.20:
	v_lshrrev_b32_e32 v3, 4, v0
	v_and_b32_e32 v3, 60, v3
	ds_write_b32 v3, v1
.LBB13_21:
	s_or_b64 exec, exec, s[0:1]
	v_cmp_gt_u32_e32 vcc, 16, v0
	s_waitcnt lgkmcnt(0)
	s_barrier
	s_and_saveexec_b64 s[2:3], vcc
	s_cbranch_execz .LBB13_23
; %bb.22:
	v_lshlrev_b32_e32 v1, 2, v2
	ds_read_b32 v1, v1
	v_and_b32_e32 v3, 15, v2
	v_cmp_ne_u32_e32 vcc, 15, v3
	v_addc_co_u32_e32 v4, vcc, 0, v2, vcc
	v_lshlrev_b32_e32 v4, 2, v4
	s_waitcnt lgkmcnt(0)
	ds_bpermute_b32 v4, v4, v1
	s_add_i32 s0, s16, 63
	s_lshr_b32 s10, s0, 6
	v_add_u32_e32 v5, 1, v3
	v_cmp_gt_u32_e64 s[0:1], 14, v3
	v_cmp_gt_u32_e32 vcc, s10, v5
	v_cndmask_b32_e64 v5, 0, 1, s[0:1]
	s_waitcnt lgkmcnt(0)
	v_add_f32_e32 v4, v1, v4
	v_lshlrev_b32_e32 v5, 1, v5
	v_cndmask_b32_e32 v4, v1, v4, vcc
	v_add_lshl_u32 v5, v5, v2, 2
	ds_bpermute_b32 v5, v5, v4
	v_add_u32_e32 v6, 2, v3
	v_cmp_gt_u32_e64 s[0:1], s10, v6
	v_add_u32_e32 v6, 4, v3
	s_waitcnt lgkmcnt(0)
	v_add_f32_e32 v5, v4, v5
	v_cndmask_b32_e64 v4, v4, v5, s[0:1]
	v_cmp_gt_u32_e64 s[0:1], 12, v3
	v_cndmask_b32_e64 v5, 0, 1, s[0:1]
	v_lshlrev_b32_e32 v5, 2, v5
	v_add_lshl_u32 v5, v5, v2, 2
	ds_bpermute_b32 v5, v5, v4
	v_cmp_gt_u32_e64 s[0:1], s10, v6
	s_waitcnt lgkmcnt(0)
	v_add_f32_e32 v5, v4, v5
	v_cndmask_b32_e64 v4, v4, v5, s[0:1]
	v_cmp_gt_u32_e64 s[0:1], 8, v3
	v_cndmask_b32_e64 v5, 0, 1, s[0:1]
	v_lshlrev_b32_e32 v5, 3, v5
	v_add_lshl_u32 v2, v5, v2, 2
	ds_bpermute_b32 v2, v2, v4
	v_add_u32_e32 v3, 8, v3
	v_cmp_gt_u32_e64 s[0:1], s10, v3
	s_waitcnt lgkmcnt(0)
	v_add_f32_e32 v2, v4, v2
	v_cndmask_b32_e64 v2, v4, v2, s[0:1]
	v_cndmask_b32_e32 v1, v1, v2, vcc
.LBB13_23:
	s_or_b64 exec, exec, s[2:3]
	v_cmp_eq_u32_e32 vcc, 0, v0
	s_and_saveexec_b64 s[0:1], vcc
	s_cbranch_execz .LBB13_25
; %bb.24:
	v_cvt_f32_i32_e32 v2, s7
	s_load_dword s10, s[4:5], 0x40
	v_div_scale_f32 v3, s[2:3], v2, v2, v1
	v_rcp_f32_e32 v4, v3
	v_div_scale_f32 v5, vcc, v1, v2, v1
	s_mov_b32 s2, 0x800000
	v_fma_f32 v6, -v3, v4, 1.0
	v_fmac_f32_e32 v4, v6, v4
	v_mul_f32_e32 v6, v5, v4
	v_fma_f32 v7, -v3, v6, v5
	v_fmac_f32_e32 v6, v7, v4
	v_fma_f32 v3, -v3, v6, v5
	v_div_fmas_f32 v3, v3, v4, v6
	v_div_fixup_f32 v1, v3, v2, v1
	s_waitcnt lgkmcnt(0)
	v_add_f32_e32 v1, s10, v1
	v_mul_f32_e32 v2, 0x4b800000, v1
	v_cmp_gt_f32_e32 vcc, s2, v1
	v_cndmask_b32_e32 v1, v1, v2, vcc
	v_rsq_f32_e32 v1, v1
	v_mul_f32_e32 v2, 0x45800000, v1
	v_cndmask_b32_e32 v1, v1, v2, vcc
	v_mov_b32_e32 v2, 0
	ds_write_b32 v2, v1 offset:64
.LBB13_25:
	s_or_b64 exec, exec, s[0:1]
	s_lshr_b32 s0, s7, 31
	s_add_i32 s0, s7, s0
	s_ashr_i32 s17, s0, 1
	v_cmp_gt_i32_e32 vcc, s17, v0
	s_waitcnt lgkmcnt(0)
	s_barrier
	s_and_saveexec_b64 s[0:1], vcc
	s_cbranch_execz .LBB13_35
; %bb.26:
	v_cvt_f32_u32_e32 v1, s16
	s_load_dwordx2 s[0:1], s[4:5], 0x0
	s_load_dwordx2 s[10:11], s[4:5], 0x38
	s_mul_i32 s2, s6, s7
	s_mov_b32 s3, 0
	v_rcp_iflag_f32_e32 v1, v1
	s_lshl_b64 s[2:3], s[2:3], 1
	v_add_u32_e32 v3, s16, v0
	s_waitcnt lgkmcnt(0)
	s_add_u32 s18, s0, s2
	v_mul_f32_e32 v1, 0x4f7ffffe, v1
	v_cvt_u32_f32_e32 v1, v1
	v_mov_b32_e32 v5, s16
	v_cmp_gt_i32_e32 vcc, s17, v3
	s_addc_u32 s19, s1, s3
	v_max_i32_e32 v4, s17, v3
	v_addc_co_u32_e64 v3, s[0:1], v0, v5, vcc
	s_sub_i32 s0, 0, s16
	v_sub_u32_e32 v3, v4, v3
	v_mul_lo_u32 v4, s0, v1
	v_mul_hi_u32 v4, v1, v4
	v_add_u32_e32 v1, v1, v4
	v_mul_hi_u32 v1, v3, v1
	v_mul_lo_u32 v4, v1, s16
	v_sub_u32_e32 v3, v3, v4
	v_add_u32_e32 v4, 1, v1
	v_cmp_le_u32_e64 s[0:1], s16, v3
	v_cndmask_b32_e64 v1, v1, v4, s[0:1]
	v_subrev_u32_e32 v4, s16, v3
	v_mov_b32_e32 v2, 0
	v_cndmask_b32_e64 v3, v3, v4, s[0:1]
	ds_read_b32 v2, v2 offset:64
	v_add_u32_e32 v4, 1, v1
	v_cmp_le_u32_e64 s[0:1], s16, v3
	v_cndmask_b32_e64 v1, v1, v4, s[0:1]
	v_addc_co_u32_e32 v1, vcc, 1, v1, vcc
	s_cmp_lg_u32 s16, 1
	v_cmp_gt_u32_e32 vcc, 2, v1
	s_cselect_b64 s[0:1], -1, 0
	s_or_b64 s[0:1], vcc, s[0:1]
	s_mov_b64 s[6:7], 0
	s_and_saveexec_b64 s[2:3], s[0:1]
	s_xor_b64 s[0:1], exec, s[2:3]
	s_cbranch_execnz .LBB13_29
; %bb.27:
	s_andn2_saveexec_b64 s[12:13], s[0:1]
	s_cbranch_execnz .LBB13_30
.LBB13_28:
	s_or_b64 exec, exec, s[12:13]
	s_and_b64 exec, exec, s[6:7]
	s_cbranch_execnz .LBB13_33
	s_branch .LBB13_35
.LBB13_29:
	s_mov_b64 s[6:7], exec
                                        ; implicit-def: $vgpr1
	s_andn2_saveexec_b64 s[12:13], s[0:1]
	s_cbranch_execz .LBB13_28
.LBB13_30:
	v_and_b32_e32 v6, -2, v1
	s_waitcnt lgkmcnt(0)
	v_mov_b32_e32 v3, v2
	s_mov_b64 s[14:15], 0
	v_mov_b32_e32 v5, 0
	v_mov_b32_e32 v7, s9
	v_mov_b32_e32 v8, s11
	s_movk_i32 s20, 0x7fff
	v_mov_b32_e32 v9, 0x7fc00000
	v_mov_b32_e32 v10, s19
	;; [unrolled: 1-line block ×5, first 2 shown]
.LBB13_31:                              ; =>This Inner Loop Header: Depth=1
	v_lshlrev_b64 v[14:15], 2, v[4:5]
	v_add_co_u32_e32 v16, vcc, s8, v14
	v_addc_co_u32_e32 v17, vcc, v7, v15, vcc
	v_add_co_u32_e32 v18, vcc, s10, v14
	v_addc_co_u32_e32 v19, vcc, v8, v15, vcc
	global_load_dwordx2 v[20:21], v[16:17], off
	global_load_dwordx2 v[22:23], v[18:19], off
	v_add_co_u32_e32 v14, vcc, s18, v14
	v_add_u32_e32 v12, -2, v12
	v_addc_co_u32_e32 v15, vcc, v10, v15, vcc
	v_cmp_eq_u32_e32 vcc, 0, v12
	s_or_b64 s[14:15], vcc, s[14:15]
	v_add_u32_e32 v4, 2, v4
	s_waitcnt vmcnt(1)
	v_and_b32_e32 v17, 0xffff0000, v21
	v_and_b32_e32 v16, 0xffff0000, v20
	v_lshlrev_b32_e32 v21, 16, v21
	v_lshlrev_b32_e32 v20, 16, v20
	v_pk_mul_f32 v[20:21], v[2:3], v[20:21]
	v_pk_mul_f32 v[16:17], v[2:3], v[16:17]
	v_bfe_u32 v13, v20, 16, 1
	v_bfe_u32 v24, v21, 16, 1
	;; [unrolled: 1-line block ×4, first 2 shown]
	v_add3_u32 v24, v21, v24, s20
	v_add3_u32 v13, v20, v13, s20
	;; [unrolled: 1-line block ×4, first 2 shown]
	v_and_b32_e32 v13, 0xffff0000, v13
	v_and_b32_e32 v24, 0xffff0000, v24
	v_cmp_o_f32_e32 vcc, v20, v20
	v_and_b32_e32 v20, 0xffff0000, v25
	v_and_b32_e32 v25, 0xffff0000, v26
	v_cmp_o_f32_e64 s[0:1], v17, v17
	v_cmp_o_f32_e64 s[2:3], v16, v16
	;; [unrolled: 1-line block ×3, first 2 shown]
	s_waitcnt vmcnt(0)
	v_and_b32_e32 v19, 0xffff0000, v23
	v_and_b32_e32 v18, 0xffff0000, v22
	v_lshlrev_b32_e32 v23, 16, v23
	v_lshlrev_b32_e32 v22, 16, v22
	v_cndmask_b32_e64 v17, v9, v24, s[4:5]
	v_cndmask_b32_e32 v16, v9, v13, vcc
	v_cndmask_b32_e64 v21, v9, v25, s[0:1]
	v_cndmask_b32_e64 v20, v9, v20, s[2:3]
	v_pk_mul_f32 v[16:17], v[16:17], v[22:23]
	v_pk_mul_f32 v[18:19], v[20:21], v[18:19]
	v_bfe_u32 v13, v17, 16, 1
	v_bfe_u32 v20, v16, 16, 1
	;; [unrolled: 1-line block ×4, first 2 shown]
	v_add3_u32 v20, v16, v20, s20
	v_add3_u32 v13, v17, v13, s20
	;; [unrolled: 1-line block ×4, first 2 shown]
	v_lshrrev_b32_e32 v13, 16, v13
	v_lshrrev_b32_e32 v20, 16, v20
	v_and_b32_e32 v21, 0xffff0000, v21
	v_and_b32_e32 v22, 0xffff0000, v22
	v_cmp_o_f32_e32 vcc, v19, v19
	v_cmp_o_f32_e64 s[0:1], v16, v16
	v_cmp_o_f32_e64 s[2:3], v17, v17
	;; [unrolled: 1-line block ×3, first 2 shown]
	v_cndmask_b32_e64 v16, v9, v22, s[4:5]
	v_cndmask_b32_e32 v17, v9, v21, vcc
	v_cndmask_b32_e64 v18, v11, v20, s[0:1]
	v_cndmask_b32_e64 v13, v11, v13, s[2:3]
	v_or_b32_e32 v17, v17, v13
	v_or_b32_e32 v16, v16, v18
	global_store_dwordx2 v[14:15], v[16:17], off
	s_andn2_b64 exec, exec, s[14:15]
	s_cbranch_execnz .LBB13_31
; %bb.32:
	s_or_b64 exec, exec, s[14:15]
	v_cmp_ne_u32_e32 vcc, v1, v6
	s_andn2_b64 s[0:1], s[6:7], exec
	s_and_b64 s[2:3], vcc, exec
	v_add_u32_e32 v0, v0, v6
	s_or_b64 s[6:7], s[0:1], s[2:3]
	s_or_b64 exec, exec, s[12:13]
	s_and_b64 exec, exec, s[6:7]
	s_cbranch_execz .LBB13_35
.LBB13_33:
	s_mov_b32 s0, 0
	v_mov_b32_e32 v1, 0
	s_waitcnt lgkmcnt(0)
	v_mov_b32_e32 v3, v2
	v_lshlrev_b64 v[4:5], 2, v[0:1]
	s_lshl_b32 s4, s16, 2
	s_mov_b64 s[2:3], 0
	v_mov_b32_e32 v1, s9
	v_mov_b32_e32 v6, s11
	;; [unrolled: 1-line block ×3, first 2 shown]
	s_movk_i32 s5, 0x7fff
	v_mov_b32_e32 v8, 0x7fc00000
	v_mov_b32_e32 v9, 0x7fc0
	;; [unrolled: 1-line block ×3, first 2 shown]
.LBB13_34:                              ; =>This Inner Loop Header: Depth=1
	v_add_co_u32_e32 v12, vcc, s8, v4
	v_addc_co_u32_e32 v13, vcc, v1, v5, vcc
	v_add_co_u32_e32 v14, vcc, s10, v4
	v_addc_co_u32_e32 v15, vcc, v6, v5, vcc
	global_load_dword v11, v[12:13], off
	global_load_dword v17, v[14:15], off
	v_add_co_u32_e32 v12, vcc, s18, v4
	v_addc_co_u32_e32 v13, vcc, v7, v5, vcc
	v_add_co_u32_e32 v4, vcc, s4, v4
	v_add_u32_e32 v0, s16, v0
	v_addc_co_u32_e32 v5, vcc, v5, v10, vcc
	v_cmp_le_i32_e32 vcc, s17, v0
	s_or_b64 s[2:3], vcc, s[2:3]
	s_waitcnt vmcnt(1)
	v_and_b32_e32 v14, 0xffff0000, v11
	v_lshlrev_b32_e32 v15, 16, v11
	v_pk_mul_f32 v[14:15], v[2:3], v[14:15]
	v_bfe_u32 v11, v14, 16, 1
	v_bfe_u32 v18, v15, 16, 1
	v_add3_u32 v18, v15, v18, s5
	v_add3_u32 v11, v14, v11, s5
	v_and_b32_e32 v11, 0xffff0000, v11
	v_and_b32_e32 v18, 0xffff0000, v18
	v_cmp_o_f32_e32 vcc, v14, v14
	v_cmp_o_f32_e64 s[0:1], v15, v15
	s_waitcnt vmcnt(0)
	v_and_b32_e32 v16, 0xffff0000, v17
	v_lshlrev_b32_e32 v17, 16, v17
	v_cndmask_b32_e64 v15, v8, v18, s[0:1]
	v_cndmask_b32_e32 v14, v8, v11, vcc
	v_pk_mul_f32 v[14:15], v[14:15], v[16:17]
	v_bfe_u32 v11, v14, 16, 1
	v_bfe_u32 v16, v15, 16, 1
	v_add3_u32 v16, v15, v16, s5
	v_add3_u32 v11, v14, v11, s5
	v_and_b32_e32 v11, 0xffff0000, v11
	v_lshrrev_b32_e32 v16, 16, v16
	v_cmp_o_f32_e32 vcc, v14, v14
	v_cmp_o_f32_e64 s[0:1], v15, v15
	v_cndmask_b32_e64 v14, v9, v16, s[0:1]
	v_cndmask_b32_e32 v11, v8, v11, vcc
	v_or_b32_e32 v11, v11, v14
	global_store_dword v[12:13], v11, off
	s_andn2_b64 exec, exec, s[2:3]
	s_cbranch_execnz .LBB13_34
.LBB13_35:
	s_endpgm
	.section	.rodata,"a",@progbits
	.p2align	6, 0x0
	.amdhsa_kernel _ZN4vllm15rms_norm_kernelIN3c108BFloat16ELi2ELi2EEEvPT_PKS3_lllllS6_fii
		.amdhsa_group_segment_fixed_size 68
		.amdhsa_private_segment_fixed_size 0
		.amdhsa_kernarg_size 336
		.amdhsa_user_sgpr_count 6
		.amdhsa_user_sgpr_private_segment_buffer 1
		.amdhsa_user_sgpr_dispatch_ptr 0
		.amdhsa_user_sgpr_queue_ptr 0
		.amdhsa_user_sgpr_kernarg_segment_ptr 1
		.amdhsa_user_sgpr_dispatch_id 0
		.amdhsa_user_sgpr_flat_scratch_init 0
		.amdhsa_user_sgpr_kernarg_preload_length 0
		.amdhsa_user_sgpr_kernarg_preload_offset 0
		.amdhsa_user_sgpr_private_segment_size 0
		.amdhsa_uses_dynamic_stack 0
		.amdhsa_system_sgpr_private_segment_wavefront_offset 0
		.amdhsa_system_sgpr_workgroup_id_x 1
		.amdhsa_system_sgpr_workgroup_id_y 0
		.amdhsa_system_sgpr_workgroup_id_z 0
		.amdhsa_system_sgpr_workgroup_info 0
		.amdhsa_system_vgpr_workitem_id 0
		.amdhsa_next_free_vgpr 27
		.amdhsa_next_free_sgpr 21
		.amdhsa_accum_offset 28
		.amdhsa_reserve_vcc 1
		.amdhsa_reserve_flat_scratch 0
		.amdhsa_float_round_mode_32 0
		.amdhsa_float_round_mode_16_64 0
		.amdhsa_float_denorm_mode_32 3
		.amdhsa_float_denorm_mode_16_64 3
		.amdhsa_dx10_clamp 1
		.amdhsa_ieee_mode 1
		.amdhsa_fp16_overflow 0
		.amdhsa_tg_split 0
		.amdhsa_exception_fp_ieee_invalid_op 0
		.amdhsa_exception_fp_denorm_src 0
		.amdhsa_exception_fp_ieee_div_zero 0
		.amdhsa_exception_fp_ieee_overflow 0
		.amdhsa_exception_fp_ieee_underflow 0
		.amdhsa_exception_fp_ieee_inexact 0
		.amdhsa_exception_int_div_zero 0
	.end_amdhsa_kernel
	.section	.text._ZN4vllm15rms_norm_kernelIN3c108BFloat16ELi2ELi2EEEvPT_PKS3_lllllS6_fii,"axG",@progbits,_ZN4vllm15rms_norm_kernelIN3c108BFloat16ELi2ELi2EEEvPT_PKS3_lllllS6_fii,comdat
.Lfunc_end13:
	.size	_ZN4vllm15rms_norm_kernelIN3c108BFloat16ELi2ELi2EEEvPT_PKS3_lllllS6_fii, .Lfunc_end13-_ZN4vllm15rms_norm_kernelIN3c108BFloat16ELi2ELi2EEEvPT_PKS3_lllllS6_fii
                                        ; -- End function
	.section	.AMDGPU.csdata,"",@progbits
; Kernel info:
; codeLenInByte = 2672
; NumSgprs: 25
; NumVgprs: 27
; NumAgprs: 0
; TotalNumVgprs: 27
; ScratchSize: 0
; MemoryBound: 0
; FloatMode: 240
; IeeeMode: 1
; LDSByteSize: 68 bytes/workgroup (compile time only)
; SGPRBlocks: 3
; VGPRBlocks: 3
; NumSGPRsForWavesPerEU: 25
; NumVGPRsForWavesPerEU: 27
; AccumOffset: 28
; Occupancy: 8
; WaveLimiterHint : 0
; COMPUTE_PGM_RSRC2:SCRATCH_EN: 0
; COMPUTE_PGM_RSRC2:USER_SGPR: 6
; COMPUTE_PGM_RSRC2:TRAP_HANDLER: 0
; COMPUTE_PGM_RSRC2:TGID_X_EN: 1
; COMPUTE_PGM_RSRC2:TGID_Y_EN: 0
; COMPUTE_PGM_RSRC2:TGID_Z_EN: 0
; COMPUTE_PGM_RSRC2:TIDIG_COMP_CNT: 0
; COMPUTE_PGM_RSRC3_GFX90A:ACCUM_OFFSET: 6
; COMPUTE_PGM_RSRC3_GFX90A:TG_SPLIT: 0
	.section	.text._ZN4vllm15rms_norm_kernelIN3c108BFloat16ELi1ELi2EEEvPT_PKS3_lllllS6_fii,"axG",@progbits,_ZN4vllm15rms_norm_kernelIN3c108BFloat16ELi1ELi2EEEvPT_PKS3_lllllS6_fii,comdat
	.protected	_ZN4vllm15rms_norm_kernelIN3c108BFloat16ELi1ELi2EEEvPT_PKS3_lllllS6_fii ; -- Begin function _ZN4vllm15rms_norm_kernelIN3c108BFloat16ELi1ELi2EEEvPT_PKS3_lllllS6_fii
	.globl	_ZN4vllm15rms_norm_kernelIN3c108BFloat16ELi1ELi2EEEvPT_PKS3_lllllS6_fii
	.p2align	8
	.type	_ZN4vllm15rms_norm_kernelIN3c108BFloat16ELi1ELi2EEEvPT_PKS3_lllllS6_fii,@function
_ZN4vllm15rms_norm_kernelIN3c108BFloat16ELi1ELi2EEEvPT_PKS3_lllllS6_fii: ; @_ZN4vllm15rms_norm_kernelIN3c108BFloat16ELi1ELi2EEEvPT_PKS3_lllllS6_fii
; %bb.0:
	s_load_dwordx4 s[8:11], s[4:5], 0x8
	s_load_dword s7, s[4:5], 0x48
	s_load_dword s13, s[4:5], 0x5c
	s_waitcnt lgkmcnt(0)
	s_mul_i32 s0, s6, s11
	s_mul_hi_u32 s1, s6, s10
	s_add_i32 s1, s1, s0
	s_mul_i32 s0, s6, s10
	s_lshl_b64 s[2:3], s[0:1], 1
	s_add_u32 s12, s8, s2
	s_addc_u32 s14, s9, s3
	s_and_b32 s13, s13, 0xffff
	s_bitcmp1_b32 s12, 0
	s_cselect_b64 s[0:1], -1, 0
	s_and_b64 vcc, exec, s[0:1]
	s_cbranch_vccz .LBB14_6
; %bb.1:
	s_min_i32 s10, s7, 0
	s_sub_i32 s15, s7, s10
	s_mov_b32 s17, 0
	v_cmp_gt_i32_e32 vcc, s15, v0
	v_mov_b32_e32 v4, 0
	s_and_saveexec_b64 s[0:1], vcc
	s_cbranch_execz .LBB14_5
; %bb.2:
	s_ashr_i32 s11, s10, 31
	s_lshl_b64 s[10:11], s[10:11], 1
	s_add_u32 s10, s2, s10
	s_addc_u32 s11, s3, s11
	s_add_u32 s10, s8, s10
	v_lshlrev_b32_e32 v1, 1, v0
	s_addc_u32 s11, s9, s11
	v_mov_b32_e32 v3, s11
	v_add_co_u32_e32 v2, vcc, s10, v1
	v_addc_co_u32_e32 v3, vcc, 0, v3, vcc
	s_lshl_b32 s16, s13, 1
	s_mov_b64 s[10:11], 0
	v_mov_b32_e32 v4, 0
	v_mov_b32_e32 v1, s17
	;; [unrolled: 1-line block ×3, first 2 shown]
.LBB14_3:                               ; =>This Inner Loop Header: Depth=1
	global_load_ushort v6, v[2:3], off
	v_add_co_u32_e32 v2, vcc, s16, v2
	v_add_u32_e32 v5, s13, v5
	v_addc_co_u32_e32 v3, vcc, v3, v1, vcc
	v_cmp_le_i32_e32 vcc, s15, v5
	s_or_b64 s[10:11], vcc, s[10:11]
	s_waitcnt vmcnt(0)
	v_lshlrev_b32_e32 v6, 16, v6
	v_fmac_f32_e32 v4, v6, v6
	s_andn2_b64 exec, exec, s[10:11]
	s_cbranch_execnz .LBB14_3
; %bb.4:
	s_or_b64 exec, exec, s[10:11]
.LBB14_5:
	s_or_b64 exec, exec, s[0:1]
	v_cmp_gt_i32_e64 s[0:1], s7, v0
	s_cbranch_execz .LBB14_7
	s_branch .LBB14_12
.LBB14_6:
                                        ; implicit-def: $vgpr4
	v_cmp_gt_i32_e64 s[0:1], s7, v0
.LBB14_7:
	v_mov_b32_e32 v4, 0
	s_and_saveexec_b64 s[10:11], s[0:1]
	s_cbranch_execz .LBB14_11
; %bb.8:
	s_add_u32 s0, s8, s2
	v_lshlrev_b32_e32 v1, 1, v0
	s_addc_u32 s1, s9, s3
	s_mov_b32 s15, 0
	v_mov_b32_e32 v3, s1
	v_add_co_u32_e32 v2, vcc, s0, v1
	v_addc_co_u32_e32 v3, vcc, 0, v3, vcc
	s_lshl_b32 s2, s13, 1
	s_mov_b64 s[0:1], 0
	v_mov_b32_e32 v4, 0
	v_mov_b32_e32 v1, s15
	v_mov_b32_e32 v5, v0
.LBB14_9:                               ; =>This Inner Loop Header: Depth=1
	global_load_ushort v6, v[2:3], off
	v_add_co_u32_e32 v2, vcc, s2, v2
	v_add_u32_e32 v5, s13, v5
	v_addc_co_u32_e32 v3, vcc, v3, v1, vcc
	v_cmp_le_i32_e32 vcc, s7, v5
	s_or_b64 s[0:1], vcc, s[0:1]
	s_waitcnt vmcnt(0)
	v_lshlrev_b32_e32 v6, 16, v6
	v_fmac_f32_e32 v4, v6, v6
	s_andn2_b64 exec, exec, s[0:1]
	s_cbranch_execnz .LBB14_9
; %bb.10:
	s_or_b64 exec, exec, s[0:1]
.LBB14_11:
	s_or_b64 exec, exec, s[10:11]
.LBB14_12:
	v_mbcnt_lo_u32_b32 v1, -1, 0
	v_mbcnt_hi_u32_b32 v1, -1, v1
	v_and_b32_e32 v2, 63, v1
	v_cmp_ne_u32_e32 vcc, 63, v2
	v_addc_co_u32_e32 v3, vcc, 0, v1, vcc
	v_lshlrev_b32_e32 v3, 2, v3
	ds_bpermute_b32 v3, v3, v4
	v_and_b32_e32 v5, 0x3c0, v0
	v_sub_u32_e64 v5, s13, v5 clamp
	v_add_u32_e32 v6, 1, v1
	v_cmp_lt_u32_e32 vcc, v6, v5
	s_waitcnt lgkmcnt(0)
	v_add_f32_e32 v3, v4, v3
	v_cndmask_b32_e32 v3, v4, v3, vcc
	v_cmp_gt_u32_e32 vcc, 62, v2
	v_cndmask_b32_e64 v4, 0, 1, vcc
	v_lshlrev_b32_e32 v4, 1, v4
	v_add_lshl_u32 v4, v4, v1, 2
	ds_bpermute_b32 v4, v4, v3
	v_add_u32_e32 v6, 2, v1
	v_cmp_lt_u32_e32 vcc, v6, v5
	v_add_u32_e32 v6, 4, v1
	s_waitcnt lgkmcnt(0)
	v_add_f32_e32 v4, v3, v4
	v_cndmask_b32_e32 v3, v3, v4, vcc
	v_cmp_gt_u32_e32 vcc, 60, v2
	v_cndmask_b32_e64 v4, 0, 1, vcc
	v_lshlrev_b32_e32 v4, 2, v4
	v_add_lshl_u32 v4, v4, v1, 2
	ds_bpermute_b32 v4, v4, v3
	v_cmp_lt_u32_e32 vcc, v6, v5
	v_add_u32_e32 v6, 8, v1
	s_waitcnt lgkmcnt(0)
	v_add_f32_e32 v4, v3, v4
	v_cndmask_b32_e32 v3, v3, v4, vcc
	v_cmp_gt_u32_e32 vcc, 56, v2
	v_cndmask_b32_e64 v4, 0, 1, vcc
	v_lshlrev_b32_e32 v4, 3, v4
	v_add_lshl_u32 v4, v4, v1, 2
	ds_bpermute_b32 v4, v4, v3
	;; [unrolled: 10-line block ×3, first 2 shown]
	v_cmp_lt_u32_e32 vcc, v6, v5
	s_waitcnt lgkmcnt(0)
	v_add_f32_e32 v4, v3, v4
	v_cndmask_b32_e32 v3, v3, v4, vcc
	v_cmp_gt_u32_e32 vcc, 32, v2
	v_cndmask_b32_e64 v2, 0, 1, vcc
	v_lshlrev_b32_e32 v2, 5, v2
	v_add_lshl_u32 v2, v2, v1, 2
	ds_bpermute_b32 v2, v2, v3
	v_add_u32_e32 v4, 32, v1
	v_cmp_lt_u32_e32 vcc, v4, v5
	s_waitcnt lgkmcnt(0)
	v_add_f32_e32 v2, v3, v2
	v_cndmask_b32_e32 v2, v3, v2, vcc
	v_cmp_eq_u32_e32 vcc, 0, v1
	s_and_saveexec_b64 s[0:1], vcc
	s_cbranch_execz .LBB14_14
; %bb.13:
	v_lshrrev_b32_e32 v3, 4, v0
	v_and_b32_e32 v3, 60, v3
	ds_write_b32 v3, v2
.LBB14_14:
	s_or_b64 exec, exec, s[0:1]
	v_cmp_gt_u32_e32 vcc, 16, v0
	s_waitcnt lgkmcnt(0)
	s_barrier
	s_and_saveexec_b64 s[2:3], vcc
	s_cbranch_execz .LBB14_16
; %bb.15:
	v_lshlrev_b32_e32 v2, 2, v1
	ds_read_b32 v2, v2
	v_and_b32_e32 v3, 15, v1
	v_cmp_ne_u32_e32 vcc, 15, v3
	v_addc_co_u32_e32 v4, vcc, 0, v1, vcc
	v_lshlrev_b32_e32 v4, 2, v4
	s_waitcnt lgkmcnt(0)
	ds_bpermute_b32 v4, v4, v2
	s_add_i32 s0, s13, 63
	s_lshr_b32 s8, s0, 6
	v_add_u32_e32 v5, 1, v3
	v_cmp_gt_u32_e64 s[0:1], 14, v3
	v_cmp_gt_u32_e32 vcc, s8, v5
	v_cndmask_b32_e64 v5, 0, 1, s[0:1]
	s_waitcnt lgkmcnt(0)
	v_add_f32_e32 v4, v2, v4
	v_lshlrev_b32_e32 v5, 1, v5
	v_cndmask_b32_e32 v4, v2, v4, vcc
	v_add_lshl_u32 v5, v5, v1, 2
	ds_bpermute_b32 v5, v5, v4
	v_add_u32_e32 v6, 2, v3
	v_cmp_gt_u32_e64 s[0:1], s8, v6
	v_add_u32_e32 v6, 4, v3
	s_waitcnt lgkmcnt(0)
	v_add_f32_e32 v5, v4, v5
	v_cndmask_b32_e64 v4, v4, v5, s[0:1]
	v_cmp_gt_u32_e64 s[0:1], 12, v3
	v_cndmask_b32_e64 v5, 0, 1, s[0:1]
	v_lshlrev_b32_e32 v5, 2, v5
	v_add_lshl_u32 v5, v5, v1, 2
	ds_bpermute_b32 v5, v5, v4
	v_cmp_gt_u32_e64 s[0:1], s8, v6
	s_waitcnt lgkmcnt(0)
	v_add_f32_e32 v5, v4, v5
	v_cndmask_b32_e64 v4, v4, v5, s[0:1]
	v_cmp_gt_u32_e64 s[0:1], 8, v3
	v_cndmask_b32_e64 v5, 0, 1, s[0:1]
	v_lshlrev_b32_e32 v5, 3, v5
	v_add_lshl_u32 v1, v5, v1, 2
	ds_bpermute_b32 v1, v1, v4
	v_add_u32_e32 v3, 8, v3
	v_cmp_gt_u32_e64 s[0:1], s8, v3
	s_waitcnt lgkmcnt(0)
	v_add_f32_e32 v1, v4, v1
	v_cndmask_b32_e64 v1, v4, v1, s[0:1]
	v_cndmask_b32_e32 v2, v2, v1, vcc
.LBB14_16:
	s_or_b64 exec, exec, s[2:3]
	v_cmp_eq_u32_e32 vcc, 0, v0
	s_and_saveexec_b64 s[0:1], vcc
	s_cbranch_execz .LBB14_18
; %bb.17:
	v_cvt_f32_i32_e32 v1, s7
	s_load_dword s8, s[4:5], 0x40
	v_div_scale_f32 v3, s[2:3], v1, v1, v2
	v_rcp_f32_e32 v4, v3
	v_div_scale_f32 v5, vcc, v2, v1, v2
	s_mov_b32 s2, 0x800000
	v_fma_f32 v6, -v3, v4, 1.0
	v_fmac_f32_e32 v4, v6, v4
	v_mul_f32_e32 v6, v5, v4
	v_fma_f32 v7, -v3, v6, v5
	v_fmac_f32_e32 v6, v7, v4
	v_fma_f32 v3, -v3, v6, v5
	v_div_fmas_f32 v3, v3, v4, v6
	v_div_fixup_f32 v1, v3, v1, v2
	s_waitcnt lgkmcnt(0)
	v_add_f32_e32 v1, s8, v1
	v_mul_f32_e32 v2, 0x4b800000, v1
	v_cmp_gt_f32_e32 vcc, s2, v1
	v_cndmask_b32_e32 v1, v1, v2, vcc
	v_rsq_f32_e32 v1, v1
	v_mul_f32_e32 v2, 0x45800000, v1
	v_cndmask_b32_e32 v1, v1, v2, vcc
	v_mov_b32_e32 v2, 0
	ds_write_b32 v2, v1 offset:64
.LBB14_18:
	s_or_b64 exec, exec, s[0:1]
	v_cmp_gt_i32_e32 vcc, s7, v0
	s_waitcnt lgkmcnt(0)
	s_barrier
	s_and_saveexec_b64 s[0:1], vcc
	s_cbranch_execz .LBB14_21
; %bb.19:
	s_load_dwordx2 s[0:1], s[4:5], 0x0
	s_load_dwordx2 s[2:3], s[4:5], 0x38
	v_mov_b32_e32 v1, 0
	s_mul_i32 s4, s6, s7
	s_mov_b32 s5, 0
	ds_read_b32 v2, v1 offset:64
	s_lshl_b64 s[4:5], s[4:5], 1
	s_waitcnt lgkmcnt(0)
	s_add_u32 s6, s0, s4
	s_addc_u32 s0, s1, s5
	s_mov_b64 s[4:5], 0
	v_mov_b32_e32 v3, s14
	v_mov_b32_e32 v4, s3
	s_movk_i32 s3, 0x7fff
	v_mov_b32_e32 v5, 0x7fc00000
	v_mov_b32_e32 v6, 0x7fc0
	;; [unrolled: 1-line block ×3, first 2 shown]
.LBB14_20:                              ; =>This Inner Loop Header: Depth=1
	v_ashrrev_i32_e32 v1, 31, v0
	v_lshlrev_b64 v[8:9], 1, v[0:1]
	v_add_co_u32_e32 v10, vcc, s12, v8
	v_addc_co_u32_e32 v11, vcc, v3, v9, vcc
	v_add_co_u32_e32 v12, vcc, s2, v8
	v_addc_co_u32_e32 v13, vcc, v4, v9, vcc
	global_load_ushort v1, v[10:11], off
	global_load_ushort v14, v[12:13], off
	v_add_co_u32_e32 v8, vcc, s6, v8
	v_add_u32_e32 v0, s13, v0
	v_addc_co_u32_e32 v9, vcc, v7, v9, vcc
	v_cmp_le_i32_e32 vcc, s7, v0
	s_or_b64 s[4:5], vcc, s[4:5]
	s_waitcnt vmcnt(1)
	v_lshlrev_b32_e32 v1, 16, v1
	v_mul_f32_e32 v1, v2, v1
	v_bfe_u32 v11, v1, 16, 1
	v_add3_u32 v11, v1, v11, s3
	v_and_b32_e32 v11, 0xffff0000, v11
	v_cmp_o_f32_e64 s[0:1], v1, v1
	s_waitcnt vmcnt(0)
	v_lshlrev_b32_e32 v10, 16, v14
	v_cndmask_b32_e64 v1, v5, v11, s[0:1]
	v_mul_f32_e32 v1, v1, v10
	v_bfe_u32 v10, v1, 16, 1
	v_add3_u32 v10, v1, v10, s3
	v_lshrrev_b32_e32 v10, 16, v10
	v_cmp_o_f32_e64 s[0:1], v1, v1
	v_cndmask_b32_e64 v1, v6, v10, s[0:1]
	global_store_short v[8:9], v1, off
	s_andn2_b64 exec, exec, s[4:5]
	s_cbranch_execnz .LBB14_20
.LBB14_21:
	s_endpgm
	.section	.rodata,"a",@progbits
	.p2align	6, 0x0
	.amdhsa_kernel _ZN4vllm15rms_norm_kernelIN3c108BFloat16ELi1ELi2EEEvPT_PKS3_lllllS6_fii
		.amdhsa_group_segment_fixed_size 68
		.amdhsa_private_segment_fixed_size 0
		.amdhsa_kernarg_size 336
		.amdhsa_user_sgpr_count 6
		.amdhsa_user_sgpr_private_segment_buffer 1
		.amdhsa_user_sgpr_dispatch_ptr 0
		.amdhsa_user_sgpr_queue_ptr 0
		.amdhsa_user_sgpr_kernarg_segment_ptr 1
		.amdhsa_user_sgpr_dispatch_id 0
		.amdhsa_user_sgpr_flat_scratch_init 0
		.amdhsa_user_sgpr_kernarg_preload_length 0
		.amdhsa_user_sgpr_kernarg_preload_offset 0
		.amdhsa_user_sgpr_private_segment_size 0
		.amdhsa_uses_dynamic_stack 0
		.amdhsa_system_sgpr_private_segment_wavefront_offset 0
		.amdhsa_system_sgpr_workgroup_id_x 1
		.amdhsa_system_sgpr_workgroup_id_y 0
		.amdhsa_system_sgpr_workgroup_id_z 0
		.amdhsa_system_sgpr_workgroup_info 0
		.amdhsa_system_vgpr_workitem_id 0
		.amdhsa_next_free_vgpr 15
		.amdhsa_next_free_sgpr 18
		.amdhsa_accum_offset 16
		.amdhsa_reserve_vcc 1
		.amdhsa_reserve_flat_scratch 0
		.amdhsa_float_round_mode_32 0
		.amdhsa_float_round_mode_16_64 0
		.amdhsa_float_denorm_mode_32 3
		.amdhsa_float_denorm_mode_16_64 3
		.amdhsa_dx10_clamp 1
		.amdhsa_ieee_mode 1
		.amdhsa_fp16_overflow 0
		.amdhsa_tg_split 0
		.amdhsa_exception_fp_ieee_invalid_op 0
		.amdhsa_exception_fp_denorm_src 0
		.amdhsa_exception_fp_ieee_div_zero 0
		.amdhsa_exception_fp_ieee_overflow 0
		.amdhsa_exception_fp_ieee_underflow 0
		.amdhsa_exception_fp_ieee_inexact 0
		.amdhsa_exception_int_div_zero 0
	.end_amdhsa_kernel
	.section	.text._ZN4vllm15rms_norm_kernelIN3c108BFloat16ELi1ELi2EEEvPT_PKS3_lllllS6_fii,"axG",@progbits,_ZN4vllm15rms_norm_kernelIN3c108BFloat16ELi1ELi2EEEvPT_PKS3_lllllS6_fii,comdat
.Lfunc_end14:
	.size	_ZN4vllm15rms_norm_kernelIN3c108BFloat16ELi1ELi2EEEvPT_PKS3_lllllS6_fii, .Lfunc_end14-_ZN4vllm15rms_norm_kernelIN3c108BFloat16ELi1ELi2EEEvPT_PKS3_lllllS6_fii
                                        ; -- End function
	.section	.AMDGPU.csdata,"",@progbits
; Kernel info:
; codeLenInByte = 1472
; NumSgprs: 22
; NumVgprs: 15
; NumAgprs: 0
; TotalNumVgprs: 15
; ScratchSize: 0
; MemoryBound: 0
; FloatMode: 240
; IeeeMode: 1
; LDSByteSize: 68 bytes/workgroup (compile time only)
; SGPRBlocks: 2
; VGPRBlocks: 1
; NumSGPRsForWavesPerEU: 22
; NumVGPRsForWavesPerEU: 15
; AccumOffset: 16
; Occupancy: 8
; WaveLimiterHint : 0
; COMPUTE_PGM_RSRC2:SCRATCH_EN: 0
; COMPUTE_PGM_RSRC2:USER_SGPR: 6
; COMPUTE_PGM_RSRC2:TRAP_HANDLER: 0
; COMPUTE_PGM_RSRC2:TGID_X_EN: 1
; COMPUTE_PGM_RSRC2:TGID_Y_EN: 0
; COMPUTE_PGM_RSRC2:TGID_Z_EN: 0
; COMPUTE_PGM_RSRC2:TIDIG_COMP_CNT: 0
; COMPUTE_PGM_RSRC3_GFX90A:ACCUM_OFFSET: 3
; COMPUTE_PGM_RSRC3_GFX90A:TG_SPLIT: 0
	.section	.text._ZN4vllm15rms_norm_kernelIfLi16ELi3EEEvPT_PKS1_lllllS4_fii,"axG",@progbits,_ZN4vllm15rms_norm_kernelIfLi16ELi3EEEvPT_PKS1_lllllS4_fii,comdat
	.protected	_ZN4vllm15rms_norm_kernelIfLi16ELi3EEEvPT_PKS1_lllllS4_fii ; -- Begin function _ZN4vllm15rms_norm_kernelIfLi16ELi3EEEvPT_PKS1_lllllS4_fii
	.globl	_ZN4vllm15rms_norm_kernelIfLi16ELi3EEEvPT_PKS1_lllllS4_fii
	.p2align	8
	.type	_ZN4vllm15rms_norm_kernelIfLi16ELi3EEEvPT_PKS1_lllllS4_fii,@function
_ZN4vllm15rms_norm_kernelIfLi16ELi3EEEvPT_PKS1_lllllS4_fii: ; @_ZN4vllm15rms_norm_kernelIfLi16ELi3EEEvPT_PKS1_lllllS4_fii
; %bb.0:
	s_load_dwordx2 s[8:9], s[4:5], 0x28
	s_load_dwordx2 s[2:3], s[4:5], 0x8
	s_mov_b32 s0, 0
	s_waitcnt lgkmcnt(0)
	s_mov_b32 s1, s9
	s_cmp_lg_u64 s[0:1], 0
	s_cbranch_scc0 .LBB15_33
; %bb.1:
	s_ashr_i32 s10, s9, 31
	s_add_u32 s0, s8, s10
	s_mov_b32 s11, s10
	s_addc_u32 s1, s9, s10
	s_xor_b64 s[14:15], s[0:1], s[10:11]
	v_cvt_f32_u32_e32 v1, s14
	v_cvt_f32_u32_e32 v2, s15
	s_sub_u32 s0, 0, s14
	s_subb_u32 s1, 0, s15
	v_madmk_f32 v1, v2, 0x4f800000, v1
	v_rcp_f32_e32 v1, v1
	v_mul_f32_e32 v1, 0x5f7ffffc, v1
	v_mul_f32_e32 v2, 0x2f800000, v1
	v_trunc_f32_e32 v2, v2
	v_madmk_f32 v1, v2, 0xcf800000, v1
	v_cvt_u32_f32_e32 v2, v2
	v_cvt_u32_f32_e32 v1, v1
	v_readfirstlane_b32 s7, v2
	v_readfirstlane_b32 s9, v1
	s_mul_i32 s16, s0, s7
	s_mul_hi_u32 s18, s0, s9
	s_mul_i32 s17, s1, s9
	s_add_i32 s16, s18, s16
	s_add_i32 s16, s16, s17
	s_mul_i32 s19, s0, s9
	s_mul_hi_u32 s17, s9, s16
	s_mul_i32 s18, s9, s16
	s_mul_hi_u32 s9, s9, s19
	s_add_u32 s9, s9, s18
	s_addc_u32 s17, 0, s17
	s_mul_hi_u32 s20, s7, s19
	s_mul_i32 s19, s7, s19
	s_add_u32 s9, s9, s19
	s_mul_hi_u32 s18, s7, s16
	s_addc_u32 s9, s17, s20
	s_addc_u32 s17, s18, 0
	s_mul_i32 s16, s7, s16
	s_add_u32 s9, s9, s16
	s_addc_u32 s16, 0, s17
	v_add_co_u32_e32 v1, vcc, s9, v1
	s_cmp_lg_u64 vcc, 0
	s_addc_u32 s7, s7, s16
	v_readfirstlane_b32 s16, v1
	s_mul_i32 s9, s0, s7
	s_mul_hi_u32 s17, s0, s16
	s_add_i32 s9, s17, s9
	s_mul_i32 s1, s1, s16
	s_add_i32 s9, s9, s1
	s_mul_i32 s0, s0, s16
	s_mul_hi_u32 s17, s7, s0
	s_mul_i32 s18, s7, s0
	s_mul_i32 s20, s16, s9
	s_mul_hi_u32 s0, s16, s0
	s_mul_hi_u32 s19, s16, s9
	s_add_u32 s0, s0, s20
	s_addc_u32 s16, 0, s19
	s_add_u32 s0, s0, s18
	s_mul_hi_u32 s1, s7, s9
	s_addc_u32 s0, s16, s17
	s_addc_u32 s1, s1, 0
	s_mul_i32 s9, s7, s9
	s_add_u32 s0, s0, s9
	s_addc_u32 s1, 0, s1
	v_add_co_u32_e32 v1, vcc, s0, v1
	s_cmp_lg_u64 vcc, 0
	s_addc_u32 s0, s7, s1
	v_readfirstlane_b32 s7, v1
	s_mul_hi_u32 s1, s6, s0
	s_mul_i32 s0, s6, s0
	s_mul_hi_u32 s7, s6, s7
	s_add_u32 s0, s7, s0
	s_addc_u32 s1, 0, s1
	s_add_u32 s0, s0, 0
	s_addc_u32 s0, s1, 0
	s_addc_u32 s1, 0, 0
	s_add_u32 s7, s0, 0
	s_addc_u32 s9, 0, s1
	s_mul_i32 s0, s14, s9
	s_mul_hi_u32 s1, s14, s7
	s_add_i32 s0, s1, s0
	s_mul_i32 s1, s15, s7
	s_add_i32 s16, s0, s1
	s_mul_i32 s1, s14, s7
	v_mov_b32_e32 v1, s1
	s_sub_i32 s0, 0, s16
	v_sub_co_u32_e32 v1, vcc, s6, v1
	s_cmp_lg_u64 vcc, 0
	s_subb_u32 s17, s0, s15
	v_subrev_co_u32_e64 v2, s[0:1], s14, v1
	s_cmp_lg_u64 s[0:1], 0
	s_subb_u32 s0, s17, 0
	s_cmp_ge_u32 s0, s15
	v_readfirstlane_b32 s17, v2
	s_cselect_b32 s1, -1, 0
	s_cmp_ge_u32 s17, s14
	s_cselect_b32 s17, -1, 0
	s_cmp_eq_u32 s0, s15
	s_cselect_b32 s0, s17, s1
	s_add_u32 s1, s7, 1
	s_addc_u32 s17, s9, 0
	s_add_u32 s18, s7, 2
	s_addc_u32 s19, s9, 0
	s_cmp_lg_u32 s0, 0
	s_cselect_b32 s0, s18, s1
	s_cselect_b32 s1, s19, s17
	s_cmp_lg_u64 vcc, 0
	s_subb_u32 s16, 0, s16
	s_cmp_ge_u32 s16, s15
	v_readfirstlane_b32 s18, v1
	s_cselect_b32 s17, -1, 0
	s_cmp_ge_u32 s18, s14
	s_cselect_b32 s14, -1, 0
	s_cmp_eq_u32 s16, s15
	s_cselect_b32 s14, s14, s17
	s_cmp_lg_u32 s14, 0
	s_cselect_b32 s1, s1, s9
	s_cselect_b32 s0, s0, s7
	s_xor_b64 s[0:1], s[0:1], s[10:11]
	s_sub_u32 s0, s0, s10
	s_subb_u32 s1, s1, s10
	s_cbranch_execnz .LBB15_3
.LBB15_2:
	v_cvt_f32_u32_e32 v1, s8
	s_sub_i32 s0, 0, s8
	s_mov_b32 s1, 0
	v_rcp_iflag_f32_e32 v1, v1
	v_mul_f32_e32 v1, 0x4f7ffffe, v1
	v_cvt_u32_f32_e32 v1, v1
	v_readfirstlane_b32 s7, v1
	s_mul_i32 s0, s0, s7
	s_mul_hi_u32 s0, s7, s0
	s_add_i32 s7, s7, s0
	s_mul_hi_u32 s0, s6, s7
	s_mul_i32 s9, s0, s8
	s_sub_i32 s9, s6, s9
	s_add_i32 s7, s0, 1
	s_sub_i32 s10, s9, s8
	s_cmp_ge_u32 s9, s8
	s_cselect_b32 s0, s7, s0
	s_cselect_b32 s9, s10, s9
	s_add_i32 s7, s0, 1
	s_cmp_ge_u32 s9, s8
	s_cselect_b32 s0, s7, s0
.LBB15_3:
	s_mul_i32 s7, s0, s8
	s_load_dwordx4 s[8:11], s[4:5], 0x10
	s_bfe_i64 s[12:13], s[0:1], 0x200000
	s_sub_i32 s14, s6, s7
	s_load_dword s7, s[4:5], 0x48
	s_load_dword s12, s[4:5], 0x5c
	s_waitcnt lgkmcnt(0)
	s_mul_i32 s1, s0, s11
	s_mul_hi_u32 s11, s0, s10
	s_add_i32 s1, s11, s1
	s_mul_i32 s11, s13, s10
	s_add_i32 s1, s1, s11
	s_mul_i32 s0, s0, s10
	s_lshl_b64 s[0:1], s[0:1], 2
	s_add_u32 s10, s2, s0
	s_addc_u32 s11, s3, s1
	s_ashr_i32 s13, s14, 31
	s_mul_i32 s9, s14, s9
	s_mul_hi_u32 s15, s14, s8
	s_add_i32 s9, s15, s9
	s_mul_i32 s13, s13, s8
	s_add_i32 s9, s9, s13
	s_mul_i32 s8, s14, s8
	s_lshl_b64 s[8:9], s[8:9], 2
	s_add_u32 s16, s10, s8
	s_addc_u32 s17, s11, s9
	s_and_b32 s18, s12, 0xffff
	s_and_b32 s10, s16, 63
	s_mov_b32 s11, 0
	s_cmp_lg_u64 s[10:11], 0
	s_cselect_b64 s[10:11], -1, 0
	s_and_b32 s12, s7, 15
	s_cmp_lg_u32 s12, 0
	s_cselect_b64 s[12:13], -1, 0
	s_or_b64 s[10:11], s[12:13], s[10:11]
	s_and_b64 vcc, exec, s[10:11]
	s_cbranch_vccz .LBB15_17
; %bb.4:
	s_sub_i32 s10, 0, s16
	s_bfe_u32 s10, s10, 0x40002
	s_min_i32 s10, s10, s7
	v_cmp_gt_i32_e32 vcc, s10, v0
	v_mov_b32_e32 v1, 0
	s_and_saveexec_b64 s[12:13], vcc
	s_cbranch_execz .LBB15_8
; %bb.5:
	s_add_u32 s11, s8, s0
	s_addc_u32 s14, s9, s1
	s_add_u32 s11, s2, s11
	v_lshlrev_b32_e32 v1, 2, v0
	s_addc_u32 s14, s3, s14
	s_mov_b32 s19, 0
	v_mov_b32_e32 v3, s14
	v_add_co_u32_e32 v2, vcc, s11, v1
	v_addc_co_u32_e32 v3, vcc, 0, v3, vcc
	s_lshl_b32 s11, s18, 2
	s_mov_b64 s[14:15], 0
	v_mov_b32_e32 v1, 0
	v_mov_b32_e32 v4, s19
	;; [unrolled: 1-line block ×3, first 2 shown]
.LBB15_6:                               ; =>This Inner Loop Header: Depth=1
	global_load_dword v6, v[2:3], off
	v_add_co_u32_e32 v2, vcc, s11, v2
	v_add_u32_e32 v5, s18, v5
	v_addc_co_u32_e32 v3, vcc, v3, v4, vcc
	v_cmp_le_i32_e32 vcc, s10, v5
	s_or_b64 s[14:15], vcc, s[14:15]
	s_waitcnt vmcnt(0)
	v_fmac_f32_e32 v1, v6, v6
	s_andn2_b64 exec, exec, s[14:15]
	s_cbranch_execnz .LBB15_6
; %bb.7:
	s_or_b64 exec, exec, s[14:15]
.LBB15_8:
	s_or_b64 exec, exec, s[12:13]
	s_sub_i32 s19, s7, s10
	s_ashr_i32 s12, s19, 31
	s_lshr_b32 s12, s12, 28
	s_add_i32 s12, s19, s12
	s_ashr_i32 s20, s12, 4
	s_ashr_i32 s11, s10, 31
	v_cmp_gt_i32_e32 vcc, s20, v0
	s_and_saveexec_b64 s[12:13], vcc
	s_cbranch_execz .LBB15_12
; %bb.9:
	s_add_u32 s21, s8, s0
	s_addc_u32 s22, s9, s1
	s_lshl_b64 s[14:15], s[10:11], 2
	s_add_u32 s14, s2, s14
	s_addc_u32 s15, s3, s15
	s_add_u32 s14, s14, s21
	v_lshlrev_b32_e32 v2, 6, v0
	s_addc_u32 s15, s15, s22
	s_mov_b32 s23, 0
	v_mov_b32_e32 v3, s15
	v_add_co_u32_e32 v2, vcc, s14, v2
	v_addc_co_u32_e32 v3, vcc, 0, v3, vcc
	s_lshl_b32 s21, s18, 6
	s_mov_b64 s[14:15], 0
	v_mov_b32_e32 v4, s23
	v_mov_b32_e32 v5, v0
.LBB15_10:                              ; =>This Inner Loop Header: Depth=1
	global_load_dwordx4 v[6:9], v[2:3], off
	global_load_dwordx4 v[10:13], v[2:3], off offset:16
	global_load_dwordx4 v[14:17], v[2:3], off offset:32
	;; [unrolled: 1-line block ×3, first 2 shown]
	v_add_co_u32_e32 v2, vcc, s21, v2
	v_add_u32_e32 v5, s18, v5
	v_addc_co_u32_e32 v3, vcc, v3, v4, vcc
	v_cmp_le_i32_e32 vcc, s20, v5
	s_or_b64 s[14:15], vcc, s[14:15]
	s_waitcnt vmcnt(3)
	v_fmac_f32_e32 v1, v6, v6
	v_fmac_f32_e32 v1, v7, v7
	v_fmac_f32_e32 v1, v8, v8
	v_fmac_f32_e32 v1, v9, v9
	s_waitcnt vmcnt(2)
	v_fmac_f32_e32 v1, v10, v10
	v_fmac_f32_e32 v1, v11, v11
	v_fmac_f32_e32 v1, v12, v12
	v_fmac_f32_e32 v1, v13, v13
	;; [unrolled: 5-line block ×4, first 2 shown]
	s_andn2_b64 exec, exec, s[14:15]
	s_cbranch_execnz .LBB15_10
; %bb.11:
	s_or_b64 exec, exec, s[14:15]
.LBB15_12:
	s_or_b64 exec, exec, s[12:13]
	v_lshl_add_u32 v2, s20, 4, v0
	v_cmp_gt_i32_e32 vcc, s19, v2
	s_and_saveexec_b64 s[12:13], vcc
	s_cbranch_execz .LBB15_16
; %bb.13:
	s_add_u32 s14, s8, s0
	s_addc_u32 s15, s9, s1
	s_lshl_b64 s[10:11], s[10:11], 2
	s_add_u32 s10, s14, s10
	s_addc_u32 s11, s15, s11
	v_ashrrev_i32_e32 v3, 31, v2
	s_add_u32 s10, s2, s10
	v_lshlrev_b64 v[4:5], 2, v[2:3]
	s_addc_u32 s11, s3, s11
	v_mov_b32_e32 v3, s11
	v_add_co_u32_e32 v4, vcc, s10, v4
	s_mov_b32 s15, 0
	v_addc_co_u32_e32 v5, vcc, v3, v5, vcc
	s_lshl_b32 s14, s18, 2
	s_mov_b64 s[10:11], 0
	v_mov_b32_e32 v3, s15
.LBB15_14:                              ; =>This Inner Loop Header: Depth=1
	global_load_dword v6, v[4:5], off
	v_add_co_u32_e32 v4, vcc, s14, v4
	v_add_u32_e32 v2, s18, v2
	v_addc_co_u32_e32 v5, vcc, v5, v3, vcc
	v_cmp_le_i32_e32 vcc, s19, v2
	s_or_b64 s[10:11], vcc, s[10:11]
	s_waitcnt vmcnt(0)
	v_fmac_f32_e32 v1, v6, v6
	s_andn2_b64 exec, exec, s[10:11]
	s_cbranch_execnz .LBB15_14
; %bb.15:
	s_or_b64 exec, exec, s[10:11]
.LBB15_16:
	s_or_b64 exec, exec, s[12:13]
	s_branch .LBB15_23
.LBB15_17:
                                        ; implicit-def: $vgpr1
	s_cbranch_execz .LBB15_23
; %bb.18:
	s_ashr_i32 s12, s7, 4
	v_cmp_gt_i32_e32 vcc, s12, v0
	v_mov_b32_e32 v1, 0
	s_and_saveexec_b64 s[10:11], vcc
	s_cbranch_execz .LBB15_22
; %bb.19:
	s_add_u32 s0, s8, s0
	s_addc_u32 s1, s9, s1
	s_add_u32 s0, s2, s0
	v_lshlrev_b32_e32 v1, 6, v0
	s_addc_u32 s1, s3, s1
	s_mov_b32 s8, 0
	v_mov_b32_e32 v3, s1
	v_add_co_u32_e32 v2, vcc, s0, v1
	v_addc_co_u32_e32 v3, vcc, 0, v3, vcc
	s_lshl_b32 s2, s18, 6
	s_mov_b64 s[0:1], 0
	v_mov_b32_e32 v1, 0
	v_mov_b32_e32 v4, s8
	v_mov_b32_e32 v5, v0
.LBB15_20:                              ; =>This Inner Loop Header: Depth=1
	global_load_dwordx4 v[6:9], v[2:3], off
	global_load_dwordx4 v[10:13], v[2:3], off offset:16
	global_load_dwordx4 v[14:17], v[2:3], off offset:32
	;; [unrolled: 1-line block ×3, first 2 shown]
	v_add_co_u32_e32 v2, vcc, s2, v2
	v_add_u32_e32 v5, s18, v5
	v_addc_co_u32_e32 v3, vcc, v3, v4, vcc
	v_cmp_le_i32_e32 vcc, s12, v5
	s_or_b64 s[0:1], vcc, s[0:1]
	s_waitcnt vmcnt(3)
	v_fmac_f32_e32 v1, v6, v6
	v_fmac_f32_e32 v1, v7, v7
	v_fmac_f32_e32 v1, v8, v8
	v_fmac_f32_e32 v1, v9, v9
	s_waitcnt vmcnt(2)
	v_fmac_f32_e32 v1, v10, v10
	v_fmac_f32_e32 v1, v11, v11
	v_fmac_f32_e32 v1, v12, v12
	v_fmac_f32_e32 v1, v13, v13
	;; [unrolled: 5-line block ×4, first 2 shown]
	s_andn2_b64 exec, exec, s[0:1]
	s_cbranch_execnz .LBB15_20
; %bb.21:
	s_or_b64 exec, exec, s[0:1]
.LBB15_22:
	s_or_b64 exec, exec, s[10:11]
.LBB15_23:
	v_mbcnt_lo_u32_b32 v2, -1, 0
	v_mbcnt_hi_u32_b32 v2, -1, v2
	v_and_b32_e32 v3, 63, v2
	v_cmp_ne_u32_e32 vcc, 63, v3
	v_addc_co_u32_e32 v4, vcc, 0, v2, vcc
	v_lshlrev_b32_e32 v4, 2, v4
	ds_bpermute_b32 v4, v4, v1
	v_and_b32_e32 v5, 0x3c0, v0
	v_sub_u32_e64 v5, s18, v5 clamp
	v_add_u32_e32 v6, 1, v2
	v_cmp_lt_u32_e32 vcc, v6, v5
	s_waitcnt lgkmcnt(0)
	v_add_f32_e32 v4, v1, v4
	v_cndmask_b32_e32 v1, v1, v4, vcc
	v_cmp_gt_u32_e32 vcc, 62, v3
	v_cndmask_b32_e64 v4, 0, 1, vcc
	v_lshlrev_b32_e32 v4, 1, v4
	v_add_lshl_u32 v4, v4, v2, 2
	ds_bpermute_b32 v4, v4, v1
	v_add_u32_e32 v6, 2, v2
	v_cmp_lt_u32_e32 vcc, v6, v5
	v_add_u32_e32 v6, 4, v2
	s_waitcnt lgkmcnt(0)
	v_add_f32_e32 v4, v1, v4
	v_cndmask_b32_e32 v1, v1, v4, vcc
	v_cmp_gt_u32_e32 vcc, 60, v3
	v_cndmask_b32_e64 v4, 0, 1, vcc
	v_lshlrev_b32_e32 v4, 2, v4
	v_add_lshl_u32 v4, v4, v2, 2
	ds_bpermute_b32 v4, v4, v1
	v_cmp_lt_u32_e32 vcc, v6, v5
	v_add_u32_e32 v6, 8, v2
	s_waitcnt lgkmcnt(0)
	v_add_f32_e32 v4, v1, v4
	v_cndmask_b32_e32 v1, v1, v4, vcc
	v_cmp_gt_u32_e32 vcc, 56, v3
	v_cndmask_b32_e64 v4, 0, 1, vcc
	v_lshlrev_b32_e32 v4, 3, v4
	v_add_lshl_u32 v4, v4, v2, 2
	ds_bpermute_b32 v4, v4, v1
	;; [unrolled: 10-line block ×3, first 2 shown]
	v_cmp_lt_u32_e32 vcc, v6, v5
	s_waitcnt lgkmcnt(0)
	v_add_f32_e32 v4, v1, v4
	v_cndmask_b32_e32 v1, v1, v4, vcc
	v_cmp_gt_u32_e32 vcc, 32, v3
	v_cndmask_b32_e64 v3, 0, 1, vcc
	v_lshlrev_b32_e32 v3, 5, v3
	v_add_lshl_u32 v3, v3, v2, 2
	ds_bpermute_b32 v3, v3, v1
	v_add_u32_e32 v4, 32, v2
	v_cmp_lt_u32_e32 vcc, v4, v5
	s_waitcnt lgkmcnt(0)
	v_add_f32_e32 v3, v1, v3
	v_cndmask_b32_e32 v1, v1, v3, vcc
	v_cmp_eq_u32_e32 vcc, 0, v2
	s_and_saveexec_b64 s[0:1], vcc
	s_cbranch_execz .LBB15_25
; %bb.24:
	v_lshrrev_b32_e32 v3, 4, v0
	v_and_b32_e32 v3, 60, v3
	ds_write_b32 v3, v1
.LBB15_25:
	s_or_b64 exec, exec, s[0:1]
	v_cmp_gt_u32_e32 vcc, 16, v0
	s_waitcnt lgkmcnt(0)
	s_barrier
	s_and_saveexec_b64 s[2:3], vcc
	s_cbranch_execz .LBB15_27
; %bb.26:
	v_lshlrev_b32_e32 v1, 2, v2
	ds_read_b32 v1, v1
	v_and_b32_e32 v3, 15, v2
	v_cmp_ne_u32_e32 vcc, 15, v3
	v_addc_co_u32_e32 v4, vcc, 0, v2, vcc
	v_lshlrev_b32_e32 v4, 2, v4
	s_waitcnt lgkmcnt(0)
	ds_bpermute_b32 v4, v4, v1
	s_add_i32 s0, s18, 63
	s_lshr_b32 s8, s0, 6
	v_add_u32_e32 v5, 1, v3
	v_cmp_gt_u32_e64 s[0:1], 14, v3
	v_cmp_gt_u32_e32 vcc, s8, v5
	v_cndmask_b32_e64 v5, 0, 1, s[0:1]
	s_waitcnt lgkmcnt(0)
	v_add_f32_e32 v4, v1, v4
	v_lshlrev_b32_e32 v5, 1, v5
	v_cndmask_b32_e32 v4, v1, v4, vcc
	v_add_lshl_u32 v5, v5, v2, 2
	ds_bpermute_b32 v5, v5, v4
	v_add_u32_e32 v6, 2, v3
	v_cmp_gt_u32_e64 s[0:1], s8, v6
	v_add_u32_e32 v6, 4, v3
	s_waitcnt lgkmcnt(0)
	v_add_f32_e32 v5, v4, v5
	v_cndmask_b32_e64 v4, v4, v5, s[0:1]
	v_cmp_gt_u32_e64 s[0:1], 12, v3
	v_cndmask_b32_e64 v5, 0, 1, s[0:1]
	v_lshlrev_b32_e32 v5, 2, v5
	v_add_lshl_u32 v5, v5, v2, 2
	ds_bpermute_b32 v5, v5, v4
	v_cmp_gt_u32_e64 s[0:1], s8, v6
	s_waitcnt lgkmcnt(0)
	v_add_f32_e32 v5, v4, v5
	v_cndmask_b32_e64 v4, v4, v5, s[0:1]
	v_cmp_gt_u32_e64 s[0:1], 8, v3
	v_cndmask_b32_e64 v5, 0, 1, s[0:1]
	v_lshlrev_b32_e32 v5, 3, v5
	v_add_lshl_u32 v2, v5, v2, 2
	ds_bpermute_b32 v2, v2, v4
	v_add_u32_e32 v3, 8, v3
	v_cmp_gt_u32_e64 s[0:1], s8, v3
	s_waitcnt lgkmcnt(0)
	v_add_f32_e32 v2, v4, v2
	v_cndmask_b32_e64 v2, v4, v2, s[0:1]
	v_cndmask_b32_e32 v1, v1, v2, vcc
.LBB15_27:
	s_or_b64 exec, exec, s[2:3]
	v_cmp_eq_u32_e32 vcc, 0, v0
	s_and_saveexec_b64 s[0:1], vcc
	s_cbranch_execz .LBB15_29
; %bb.28:
	v_cvt_f32_i32_e32 v2, s7
	s_load_dword s8, s[4:5], 0x40
	v_div_scale_f32 v3, s[2:3], v2, v2, v1
	v_rcp_f32_e32 v4, v3
	v_div_scale_f32 v5, vcc, v1, v2, v1
	s_mov_b32 s2, 0x800000
	v_fma_f32 v6, -v3, v4, 1.0
	v_fmac_f32_e32 v4, v6, v4
	v_mul_f32_e32 v6, v5, v4
	v_fma_f32 v7, -v3, v6, v5
	v_fmac_f32_e32 v6, v7, v4
	v_fma_f32 v3, -v3, v6, v5
	v_div_fmas_f32 v3, v3, v4, v6
	v_div_fixup_f32 v1, v3, v2, v1
	s_waitcnt lgkmcnt(0)
	v_add_f32_e32 v1, s8, v1
	v_mul_f32_e32 v2, 0x4b800000, v1
	v_cmp_gt_f32_e32 vcc, s2, v1
	v_cndmask_b32_e32 v1, v1, v2, vcc
	v_rsq_f32_e32 v1, v1
	v_mul_f32_e32 v2, 0x45800000, v1
	v_cndmask_b32_e32 v1, v1, v2, vcc
	v_mov_b32_e32 v2, 0
	ds_write_b32 v2, v1 offset:64
.LBB15_29:
	s_or_b64 exec, exec, s[0:1]
	s_ashr_i32 s0, s7, 31
	s_lshr_b32 s0, s0, 28
	s_add_i32 s0, s7, s0
	s_ashr_i32 s10, s0, 4
	v_cmp_gt_i32_e32 vcc, s10, v0
	s_waitcnt lgkmcnt(0)
	s_barrier
	s_and_saveexec_b64 s[0:1], vcc
	s_cbranch_execz .LBB15_40
; %bb.30:
	v_cvt_f32_u32_e32 v1, s18
	s_load_dwordx2 s[0:1], s[4:5], 0x0
	s_load_dwordx2 s[2:3], s[4:5], 0x38
	s_mul_i32 s4, s6, s7
	s_mov_b32 s5, 0
	v_rcp_iflag_f32_e32 v1, v1
	v_mov_b32_e32 v2, 0
	s_lshl_b64 s[4:5], s[4:5], 2
	ds_read_b32 v38, v2 offset:64
	v_mul_f32_e32 v1, 0x4f7ffffe, v1
	v_add_u32_e32 v2, s18, v0
	v_cvt_u32_f32_e32 v1, v1
	s_waitcnt lgkmcnt(0)
	s_add_u32 s11, s0, s4
	v_mov_b32_e32 v4, s18
	v_cmp_gt_i32_e32 vcc, s10, v2
	s_addc_u32 s12, s1, s5
	v_max_i32_e32 v3, s10, v2
	v_addc_co_u32_e64 v2, s[0:1], v0, v4, vcc
	s_sub_i32 s0, 0, s18
	v_sub_u32_e32 v2, v3, v2
	v_mul_lo_u32 v3, s0, v1
	v_mul_hi_u32 v3, v1, v3
	v_add_u32_e32 v1, v1, v3
	v_mul_hi_u32 v1, v2, v1
	v_mul_lo_u32 v3, v1, s18
	v_sub_u32_e32 v2, v2, v3
	v_add_u32_e32 v3, 1, v1
	v_cmp_le_u32_e64 s[0:1], s18, v2
	v_cndmask_b32_e64 v1, v1, v3, s[0:1]
	v_subrev_u32_e32 v3, s18, v2
	v_cndmask_b32_e64 v2, v2, v3, s[0:1]
	v_add_u32_e32 v3, 1, v1
	v_cmp_le_u32_e64 s[0:1], s18, v2
	v_cndmask_b32_e64 v1, v1, v3, s[0:1]
	v_addc_co_u32_e32 v72, vcc, 1, v1, vcc
	s_cmp_lg_u32 s18, 1
	v_cmp_gt_u32_e32 vcc, 2, v72
	s_cselect_b64 s[0:1], -1, 0
	s_or_b64 s[0:1], vcc, s[0:1]
	s_mov_b64 s[4:5], 0
	s_and_saveexec_b64 s[6:7], s[0:1]
	s_xor_b64 s[0:1], exec, s[6:7]
	s_cbranch_execnz .LBB15_34
; %bb.31:
	s_andn2_saveexec_b64 s[6:7], s[0:1]
	s_cbranch_execnz .LBB15_35
.LBB15_32:
	s_or_b64 exec, exec, s[6:7]
	s_and_b64 exec, exec, s[4:5]
	s_cbranch_execnz .LBB15_38
	s_branch .LBB15_40
.LBB15_33:
                                        ; implicit-def: $sgpr0_sgpr1
	s_branch .LBB15_2
.LBB15_34:
	s_mov_b64 s[4:5], exec
                                        ; implicit-def: $vgpr72
	s_andn2_saveexec_b64 s[6:7], s[0:1]
	s_cbranch_execz .LBB15_32
.LBB15_35:
	v_and_b32_e32 v73, -2, v72
	v_add_u32_e32 v1, 1, v0
	v_mov_b32_e32 v39, v38
	s_mov_b64 s[8:9], 0
	v_mov_b32_e32 v74, s17
	v_mov_b32_e32 v75, s3
	;; [unrolled: 1-line block ×5, first 2 shown]
	v_pk_mov_b32 v[42:43], v[0:1], v[0:1] op_sel:[0,1]
.LBB15_36:                              ; =>This Inner Loop Header: Depth=1
	v_mov_b32_e32 v40, v42
	v_lshlrev_b64 v[44:45], 6, v[40:41]
	v_add_co_u32_e32 v2, vcc, s16, v44
	v_addc_co_u32_e32 v3, vcc, v74, v45, vcc
	v_mov_b32_e32 v40, v43
	v_add_co_u32_e32 v4, vcc, s2, v44
	v_lshlrev_b64 v[46:47], 6, v[40:41]
	v_addc_co_u32_e32 v5, vcc, v75, v45, vcc
	v_add_co_u32_e32 v26, vcc, s16, v46
	global_load_dwordx4 v[14:17], v[2:3], off offset:16
	global_load_dwordx4 v[10:13], v[2:3], off
	v_addc_co_u32_e32 v27, vcc, v74, v47, vcc
	v_add_co_u32_e32 v48, vcc, s2, v46
	v_addc_co_u32_e32 v49, vcc, v75, v47, vcc
	global_load_dwordx4 v[22:25], v[4:5], off offset:16
	global_load_dwordx4 v[34:37], v[4:5], off
	global_load_dwordx4 v[66:69], v[2:3], off offset:48
	global_load_dwordx4 v[62:65], v[2:3], off offset:32
	;; [unrolled: 1-line block ×4, first 2 shown]
	global_load_dwordx4 v[28:31], v[26:27], off
	global_load_dwordx4 v[56:59], v[48:49], off
                                        ; kill: killed $vgpr4 killed $vgpr5
                                        ; kill: killed $vgpr2 killed $vgpr3
	global_load_dwordx4 v[18:21], v[26:27], off offset:16
	global_load_dwordx4 v[6:9], v[48:49], off offset:16
	v_add_u32_e32 v77, -2, v77
	v_cmp_eq_u32_e32 vcc, 0, v77
	v_add_co_u32_e64 v44, s[0:1], s11, v44
	v_add_u32_e32 v42, 2, v42
	v_add_u32_e32 v43, 2, v43
	v_addc_co_u32_e64 v45, s[0:1], v76, v45, s[0:1]
	s_or_b64 s[8:9], vcc, s[8:9]
	v_add_co_u32_e32 v46, vcc, s11, v46
	v_addc_co_u32_e32 v47, vcc, v76, v47, vcc
	s_waitcnt vmcnt(8)
	v_mov_b32_e32 v50, v34
	v_mov_b32_e32 v34, v36
	;; [unrolled: 1-line block ×5, first 2 shown]
	s_waitcnt vmcnt(3)
	v_mov_b32_e32 v53, v28
	v_mov_b32_e32 v28, v11
	v_mov_b32_e32 v55, v30
	v_mov_b32_e32 v30, v13
	s_waitcnt vmcnt(2)
	v_mov_b32_e32 v51, v56
	v_mov_b32_e32 v56, v35
	;; [unrolled: 1-line block ×4, first 2 shown]
	v_pk_mul_f32 v[2:3], v[28:29], v[38:39]
	v_pk_mul_f32 v[4:5], v[30:31], v[38:39]
	global_load_dwordx4 v[30:33], v[26:27], off offset:32
	s_nop 0
	global_load_dwordx4 v[26:29], v[26:27], off offset:48
	v_pk_mul_f32 v[2:3], v[2:3], v[56:57]
	v_pk_mul_f32 v[4:5], v[4:5], v[58:59]
	global_load_dwordx4 v[10:13], v[48:49], off offset:32
	v_mov_b32_e32 v58, v14
	v_mov_b32_e32 v56, v16
	s_waitcnt vmcnt(4)
	v_mov_b32_e32 v59, v18
	v_mov_b32_e32 v18, v15
	;; [unrolled: 1-line block ×4, first 2 shown]
	global_load_dwordx4 v[14:17], v[48:49], off offset:48
	v_mov_b32_e32 v22, v24
	s_waitcnt vmcnt(4)
	v_mov_b32_e32 v37, v6
	v_mov_b32_e32 v6, v23
	;; [unrolled: 1-line block ×8, first 2 shown]
	v_pk_mul_f32 v[52:53], v[52:53], v[38:39]
	v_pk_mul_f32 v[54:55], v[54:55], v[38:39]
	v_mov_b32_e32 v48, v78
	v_mov_b32_e32 v68, v80
	;; [unrolled: 1-line block ×4, first 2 shown]
	v_pk_mul_f32 v[18:19], v[18:19], v[38:39]
	v_pk_mul_f32 v[20:21], v[20:21], v[38:39]
	;; [unrolled: 1-line block ×10, first 2 shown]
	v_mov_b32_e32 v18, v50
	v_mov_b32_e32 v19, v2
	;; [unrolled: 1-line block ×9, first 2 shown]
	s_waitcnt vmcnt(3)
	v_mov_b32_e32 v61, v30
	v_mov_b32_e32 v30, v63
	v_mov_b32_e32 v25, v32
	v_mov_b32_e32 v32, v65
	s_waitcnt vmcnt(2)
	v_mov_b32_e32 v65, v26
	v_mov_b32_e32 v26, v67
	v_mov_b32_e32 v63, v28
	v_mov_b32_e32 v28, v69
	;; [unrolled: 5-line block ×4, first 2 shown]
	v_pk_mul_f32 v[30:31], v[30:31], v[38:39]
	v_pk_mul_f32 v[32:33], v[32:33], v[38:39]
	;; [unrolled: 1-line block ×16, first 2 shown]
	v_mov_b32_e32 v24, v52
	v_mov_b32_e32 v25, v8
	;; [unrolled: 1-line block ×15, first 2 shown]
	global_store_dwordx4 v[44:45], v[18:21], off
	global_store_dwordx4 v[46:47], v[2:5], off
	global_store_dwordx4 v[44:45], v[22:25], off offset:16
	global_store_dwordx4 v[46:47], v[6:9], off offset:16
	;; [unrolled: 1-line block ×6, first 2 shown]
	s_andn2_b64 exec, exec, s[8:9]
	s_cbranch_execnz .LBB15_36
; %bb.37:
	s_or_b64 exec, exec, s[8:9]
	v_cmp_ne_u32_e32 vcc, v72, v73
	s_andn2_b64 s[0:1], s[4:5], exec
	s_and_b64 s[4:5], vcc, exec
	v_add_u32_e32 v0, v0, v73
	s_or_b64 s[4:5], s[0:1], s[4:5]
	s_or_b64 exec, exec, s[6:7]
	s_and_b64 exec, exec, s[4:5]
	s_cbranch_execz .LBB15_40
.LBB15_38:
	v_mov_b32_e32 v1, 0
	v_mov_b32_e32 v39, v38
	v_lshlrev_b64 v[2:3], 6, v[0:1]
	s_lshl_b32 s6, s18, 6
	s_mov_b64 s[4:5], 0
.LBB15_39:                              ; =>This Inner Loop Header: Depth=1
	v_mov_b32_e32 v1, s17
	v_add_co_u32_e64 v40, s[0:1], s16, v2
	v_mov_b32_e32 v4, s3
	v_add_co_u32_e32 v36, vcc, s2, v2
	v_addc_co_u32_e64 v41, s[0:1], v1, v3, s[0:1]
	v_addc_co_u32_e32 v37, vcc, v4, v3, vcc
	global_load_dwordx4 v[4:7], v[40:41], off
	global_load_dwordx4 v[8:11], v[40:41], off offset:16
	global_load_dwordx4 v[12:15], v[40:41], off offset:32
	global_load_dwordx4 v[16:19], v[40:41], off offset:48
	global_load_dwordx4 v[20:23], v[36:37], off
	global_load_dwordx4 v[24:27], v[36:37], off offset:16
	global_load_dwordx4 v[28:31], v[36:37], off offset:32
	;; [unrolled: 1-line block ×3, first 2 shown]
	v_add_co_u32_e32 v36, vcc, s11, v2
	s_add_u32 s11, s11, s6
	v_mov_b32_e32 v1, s12
	s_addc_u32 s12, s12, 0
	s_add_u32 s16, s16, s6
	s_addc_u32 s17, s17, 0
	v_add_u32_e32 v0, s18, v0
	v_addc_co_u32_e32 v37, vcc, v1, v3, vcc
	s_add_u32 s2, s2, s6
	v_cmp_le_i32_e32 vcc, s10, v0
	s_addc_u32 s3, s3, 0
	s_or_b64 s[4:5], vcc, s[4:5]
	s_waitcnt vmcnt(7)
	v_pk_mul_f32 v[4:5], v[4:5], v[38:39]
	v_pk_mul_f32 v[6:7], v[6:7], v[38:39]
	s_waitcnt vmcnt(6)
	v_pk_mul_f32 v[8:9], v[8:9], v[38:39]
	v_pk_mul_f32 v[10:11], v[10:11], v[38:39]
	;; [unrolled: 3-line block ×8, first 2 shown]
	global_store_dwordx4 v[36:37], v[4:7], off
	global_store_dwordx4 v[36:37], v[8:11], off offset:16
	global_store_dwordx4 v[36:37], v[12:15], off offset:32
	global_store_dwordx4 v[36:37], v[16:19], off offset:48
	s_andn2_b64 exec, exec, s[4:5]
	s_cbranch_execnz .LBB15_39
.LBB15_40:
	s_endpgm
	.section	.rodata,"a",@progbits
	.p2align	6, 0x0
	.amdhsa_kernel _ZN4vllm15rms_norm_kernelIfLi16ELi3EEEvPT_PKS1_lllllS4_fii
		.amdhsa_group_segment_fixed_size 68
		.amdhsa_private_segment_fixed_size 0
		.amdhsa_kernarg_size 336
		.amdhsa_user_sgpr_count 6
		.amdhsa_user_sgpr_private_segment_buffer 1
		.amdhsa_user_sgpr_dispatch_ptr 0
		.amdhsa_user_sgpr_queue_ptr 0
		.amdhsa_user_sgpr_kernarg_segment_ptr 1
		.amdhsa_user_sgpr_dispatch_id 0
		.amdhsa_user_sgpr_flat_scratch_init 0
		.amdhsa_user_sgpr_kernarg_preload_length 0
		.amdhsa_user_sgpr_kernarg_preload_offset 0
		.amdhsa_user_sgpr_private_segment_size 0
		.amdhsa_uses_dynamic_stack 0
		.amdhsa_system_sgpr_private_segment_wavefront_offset 0
		.amdhsa_system_sgpr_workgroup_id_x 1
		.amdhsa_system_sgpr_workgroup_id_y 0
		.amdhsa_system_sgpr_workgroup_id_z 0
		.amdhsa_system_sgpr_workgroup_info 0
		.amdhsa_system_vgpr_workitem_id 0
		.amdhsa_next_free_vgpr 86
		.amdhsa_next_free_sgpr 24
		.amdhsa_accum_offset 88
		.amdhsa_reserve_vcc 1
		.amdhsa_reserve_flat_scratch 0
		.amdhsa_float_round_mode_32 0
		.amdhsa_float_round_mode_16_64 0
		.amdhsa_float_denorm_mode_32 3
		.amdhsa_float_denorm_mode_16_64 3
		.amdhsa_dx10_clamp 1
		.amdhsa_ieee_mode 1
		.amdhsa_fp16_overflow 0
		.amdhsa_tg_split 0
		.amdhsa_exception_fp_ieee_invalid_op 0
		.amdhsa_exception_fp_denorm_src 0
		.amdhsa_exception_fp_ieee_div_zero 0
		.amdhsa_exception_fp_ieee_overflow 0
		.amdhsa_exception_fp_ieee_underflow 0
		.amdhsa_exception_fp_ieee_inexact 0
		.amdhsa_exception_int_div_zero 0
	.end_amdhsa_kernel
	.section	.text._ZN4vllm15rms_norm_kernelIfLi16ELi3EEEvPT_PKS1_lllllS4_fii,"axG",@progbits,_ZN4vllm15rms_norm_kernelIfLi16ELi3EEEvPT_PKS1_lllllS4_fii,comdat
.Lfunc_end15:
	.size	_ZN4vllm15rms_norm_kernelIfLi16ELi3EEEvPT_PKS1_lllllS4_fii, .Lfunc_end15-_ZN4vllm15rms_norm_kernelIfLi16ELi3EEEvPT_PKS1_lllllS4_fii
                                        ; -- End function
	.section	.AMDGPU.csdata,"",@progbits
; Kernel info:
; codeLenInByte = 4024
; NumSgprs: 28
; NumVgprs: 86
; NumAgprs: 0
; TotalNumVgprs: 86
; ScratchSize: 0
; MemoryBound: 0
; FloatMode: 240
; IeeeMode: 1
; LDSByteSize: 68 bytes/workgroup (compile time only)
; SGPRBlocks: 3
; VGPRBlocks: 10
; NumSGPRsForWavesPerEU: 28
; NumVGPRsForWavesPerEU: 86
; AccumOffset: 88
; Occupancy: 5
; WaveLimiterHint : 0
; COMPUTE_PGM_RSRC2:SCRATCH_EN: 0
; COMPUTE_PGM_RSRC2:USER_SGPR: 6
; COMPUTE_PGM_RSRC2:TRAP_HANDLER: 0
; COMPUTE_PGM_RSRC2:TGID_X_EN: 1
; COMPUTE_PGM_RSRC2:TGID_Y_EN: 0
; COMPUTE_PGM_RSRC2:TGID_Z_EN: 0
; COMPUTE_PGM_RSRC2:TIDIG_COMP_CNT: 0
; COMPUTE_PGM_RSRC3_GFX90A:ACCUM_OFFSET: 21
; COMPUTE_PGM_RSRC3_GFX90A:TG_SPLIT: 0
	.section	.text._ZN4vllm15rms_norm_kernelIfLi8ELi3EEEvPT_PKS1_lllllS4_fii,"axG",@progbits,_ZN4vllm15rms_norm_kernelIfLi8ELi3EEEvPT_PKS1_lllllS4_fii,comdat
	.protected	_ZN4vllm15rms_norm_kernelIfLi8ELi3EEEvPT_PKS1_lllllS4_fii ; -- Begin function _ZN4vllm15rms_norm_kernelIfLi8ELi3EEEvPT_PKS1_lllllS4_fii
	.globl	_ZN4vllm15rms_norm_kernelIfLi8ELi3EEEvPT_PKS1_lllllS4_fii
	.p2align	8
	.type	_ZN4vllm15rms_norm_kernelIfLi8ELi3EEEvPT_PKS1_lllllS4_fii,@function
_ZN4vllm15rms_norm_kernelIfLi8ELi3EEEvPT_PKS1_lllllS4_fii: ; @_ZN4vllm15rms_norm_kernelIfLi8ELi3EEEvPT_PKS1_lllllS4_fii
; %bb.0:
	s_load_dwordx2 s[8:9], s[4:5], 0x28
	s_load_dwordx2 s[2:3], s[4:5], 0x8
	s_mov_b32 s0, 0
	s_waitcnt lgkmcnt(0)
	s_mov_b32 s1, s9
	s_cmp_lg_u64 s[0:1], 0
	s_cbranch_scc0 .LBB16_33
; %bb.1:
	s_ashr_i32 s10, s9, 31
	s_add_u32 s0, s8, s10
	s_mov_b32 s11, s10
	s_addc_u32 s1, s9, s10
	s_xor_b64 s[14:15], s[0:1], s[10:11]
	v_cvt_f32_u32_e32 v1, s14
	v_cvt_f32_u32_e32 v2, s15
	s_sub_u32 s0, 0, s14
	s_subb_u32 s1, 0, s15
	v_madmk_f32 v1, v2, 0x4f800000, v1
	v_rcp_f32_e32 v1, v1
	v_mul_f32_e32 v1, 0x5f7ffffc, v1
	v_mul_f32_e32 v2, 0x2f800000, v1
	v_trunc_f32_e32 v2, v2
	v_madmk_f32 v1, v2, 0xcf800000, v1
	v_cvt_u32_f32_e32 v2, v2
	v_cvt_u32_f32_e32 v1, v1
	v_readfirstlane_b32 s7, v2
	v_readfirstlane_b32 s9, v1
	s_mul_i32 s16, s0, s7
	s_mul_hi_u32 s18, s0, s9
	s_mul_i32 s17, s1, s9
	s_add_i32 s16, s18, s16
	s_add_i32 s16, s16, s17
	s_mul_i32 s19, s0, s9
	s_mul_hi_u32 s17, s9, s16
	s_mul_i32 s18, s9, s16
	s_mul_hi_u32 s9, s9, s19
	s_add_u32 s9, s9, s18
	s_addc_u32 s17, 0, s17
	s_mul_hi_u32 s20, s7, s19
	s_mul_i32 s19, s7, s19
	s_add_u32 s9, s9, s19
	s_mul_hi_u32 s18, s7, s16
	s_addc_u32 s9, s17, s20
	s_addc_u32 s17, s18, 0
	s_mul_i32 s16, s7, s16
	s_add_u32 s9, s9, s16
	s_addc_u32 s16, 0, s17
	v_add_co_u32_e32 v1, vcc, s9, v1
	s_cmp_lg_u64 vcc, 0
	s_addc_u32 s7, s7, s16
	v_readfirstlane_b32 s16, v1
	s_mul_i32 s9, s0, s7
	s_mul_hi_u32 s17, s0, s16
	s_add_i32 s9, s17, s9
	s_mul_i32 s1, s1, s16
	s_add_i32 s9, s9, s1
	s_mul_i32 s0, s0, s16
	s_mul_hi_u32 s17, s7, s0
	s_mul_i32 s18, s7, s0
	s_mul_i32 s20, s16, s9
	s_mul_hi_u32 s0, s16, s0
	s_mul_hi_u32 s19, s16, s9
	s_add_u32 s0, s0, s20
	s_addc_u32 s16, 0, s19
	s_add_u32 s0, s0, s18
	s_mul_hi_u32 s1, s7, s9
	s_addc_u32 s0, s16, s17
	s_addc_u32 s1, s1, 0
	s_mul_i32 s9, s7, s9
	s_add_u32 s0, s0, s9
	s_addc_u32 s1, 0, s1
	v_add_co_u32_e32 v1, vcc, s0, v1
	s_cmp_lg_u64 vcc, 0
	s_addc_u32 s0, s7, s1
	v_readfirstlane_b32 s7, v1
	s_mul_hi_u32 s1, s6, s0
	s_mul_i32 s0, s6, s0
	s_mul_hi_u32 s7, s6, s7
	s_add_u32 s0, s7, s0
	s_addc_u32 s1, 0, s1
	s_add_u32 s0, s0, 0
	s_addc_u32 s0, s1, 0
	s_addc_u32 s1, 0, 0
	s_add_u32 s7, s0, 0
	s_addc_u32 s9, 0, s1
	s_mul_i32 s0, s14, s9
	s_mul_hi_u32 s1, s14, s7
	s_add_i32 s0, s1, s0
	s_mul_i32 s1, s15, s7
	s_add_i32 s16, s0, s1
	s_mul_i32 s1, s14, s7
	v_mov_b32_e32 v1, s1
	s_sub_i32 s0, 0, s16
	v_sub_co_u32_e32 v1, vcc, s6, v1
	s_cmp_lg_u64 vcc, 0
	s_subb_u32 s17, s0, s15
	v_subrev_co_u32_e64 v2, s[0:1], s14, v1
	s_cmp_lg_u64 s[0:1], 0
	s_subb_u32 s0, s17, 0
	s_cmp_ge_u32 s0, s15
	v_readfirstlane_b32 s17, v2
	s_cselect_b32 s1, -1, 0
	s_cmp_ge_u32 s17, s14
	s_cselect_b32 s17, -1, 0
	s_cmp_eq_u32 s0, s15
	s_cselect_b32 s0, s17, s1
	s_add_u32 s1, s7, 1
	s_addc_u32 s17, s9, 0
	s_add_u32 s18, s7, 2
	s_addc_u32 s19, s9, 0
	s_cmp_lg_u32 s0, 0
	s_cselect_b32 s0, s18, s1
	s_cselect_b32 s1, s19, s17
	s_cmp_lg_u64 vcc, 0
	s_subb_u32 s16, 0, s16
	s_cmp_ge_u32 s16, s15
	v_readfirstlane_b32 s18, v1
	s_cselect_b32 s17, -1, 0
	s_cmp_ge_u32 s18, s14
	s_cselect_b32 s14, -1, 0
	s_cmp_eq_u32 s16, s15
	s_cselect_b32 s14, s14, s17
	s_cmp_lg_u32 s14, 0
	s_cselect_b32 s1, s1, s9
	s_cselect_b32 s0, s0, s7
	s_xor_b64 s[0:1], s[0:1], s[10:11]
	s_sub_u32 s0, s0, s10
	s_subb_u32 s1, s1, s10
	s_cbranch_execnz .LBB16_3
.LBB16_2:
	v_cvt_f32_u32_e32 v1, s8
	s_sub_i32 s0, 0, s8
	s_mov_b32 s1, 0
	v_rcp_iflag_f32_e32 v1, v1
	v_mul_f32_e32 v1, 0x4f7ffffe, v1
	v_cvt_u32_f32_e32 v1, v1
	v_readfirstlane_b32 s7, v1
	s_mul_i32 s0, s0, s7
	s_mul_hi_u32 s0, s7, s0
	s_add_i32 s7, s7, s0
	s_mul_hi_u32 s0, s6, s7
	s_mul_i32 s9, s0, s8
	s_sub_i32 s9, s6, s9
	s_add_i32 s7, s0, 1
	s_sub_i32 s10, s9, s8
	s_cmp_ge_u32 s9, s8
	s_cselect_b32 s0, s7, s0
	s_cselect_b32 s9, s10, s9
	s_add_i32 s7, s0, 1
	s_cmp_ge_u32 s9, s8
	s_cselect_b32 s0, s7, s0
.LBB16_3:
	s_mul_i32 s7, s0, s8
	s_load_dwordx4 s[8:11], s[4:5], 0x10
	s_bfe_i64 s[12:13], s[0:1], 0x200000
	s_sub_i32 s14, s6, s7
	s_load_dword s7, s[4:5], 0x48
	s_load_dword s12, s[4:5], 0x5c
	s_waitcnt lgkmcnt(0)
	s_mul_i32 s1, s0, s11
	s_mul_hi_u32 s11, s0, s10
	s_add_i32 s1, s11, s1
	s_mul_i32 s11, s13, s10
	s_add_i32 s1, s1, s11
	s_mul_i32 s0, s0, s10
	s_lshl_b64 s[0:1], s[0:1], 2
	s_add_u32 s10, s2, s0
	s_addc_u32 s11, s3, s1
	s_ashr_i32 s13, s14, 31
	s_mul_i32 s9, s14, s9
	s_mul_hi_u32 s15, s14, s8
	s_add_i32 s9, s15, s9
	s_mul_i32 s13, s13, s8
	s_add_i32 s9, s9, s13
	s_mul_i32 s8, s14, s8
	s_lshl_b64 s[8:9], s[8:9], 2
	s_add_u32 s16, s10, s8
	s_addc_u32 s17, s11, s9
	s_and_b32 s18, s12, 0xffff
	s_and_b32 s10, s16, 31
	s_mov_b32 s11, 0
	s_cmp_lg_u64 s[10:11], 0
	s_cselect_b64 s[10:11], -1, 0
	s_and_b32 s12, s7, 7
	s_cmp_lg_u32 s12, 0
	s_cselect_b64 s[12:13], -1, 0
	s_or_b64 s[10:11], s[12:13], s[10:11]
	s_and_b64 vcc, exec, s[10:11]
	s_cbranch_vccz .LBB16_17
; %bb.4:
	s_sub_i32 s10, 0, s16
	s_bfe_u32 s10, s10, 0x30002
	s_min_i32 s10, s10, s7
	v_cmp_gt_i32_e32 vcc, s10, v0
	v_mov_b32_e32 v1, 0
	s_and_saveexec_b64 s[12:13], vcc
	s_cbranch_execz .LBB16_8
; %bb.5:
	s_add_u32 s11, s8, s0
	s_addc_u32 s14, s9, s1
	s_add_u32 s11, s2, s11
	v_lshlrev_b32_e32 v1, 2, v0
	s_addc_u32 s14, s3, s14
	s_mov_b32 s19, 0
	v_mov_b32_e32 v3, s14
	v_add_co_u32_e32 v2, vcc, s11, v1
	v_addc_co_u32_e32 v3, vcc, 0, v3, vcc
	s_lshl_b32 s11, s18, 2
	s_mov_b64 s[14:15], 0
	v_mov_b32_e32 v1, 0
	v_mov_b32_e32 v4, s19
	v_mov_b32_e32 v5, v0
.LBB16_6:                               ; =>This Inner Loop Header: Depth=1
	global_load_dword v6, v[2:3], off
	v_add_co_u32_e32 v2, vcc, s11, v2
	v_add_u32_e32 v5, s18, v5
	v_addc_co_u32_e32 v3, vcc, v3, v4, vcc
	v_cmp_le_i32_e32 vcc, s10, v5
	s_or_b64 s[14:15], vcc, s[14:15]
	s_waitcnt vmcnt(0)
	v_fmac_f32_e32 v1, v6, v6
	s_andn2_b64 exec, exec, s[14:15]
	s_cbranch_execnz .LBB16_6
; %bb.7:
	s_or_b64 exec, exec, s[14:15]
.LBB16_8:
	s_or_b64 exec, exec, s[12:13]
	s_sub_i32 s19, s7, s10
	s_ashr_i32 s12, s19, 31
	s_lshr_b32 s12, s12, 29
	s_add_i32 s12, s19, s12
	s_ashr_i32 s20, s12, 3
	s_ashr_i32 s11, s10, 31
	v_cmp_gt_i32_e32 vcc, s20, v0
	s_and_saveexec_b64 s[12:13], vcc
	s_cbranch_execz .LBB16_12
; %bb.9:
	s_add_u32 s21, s8, s0
	s_addc_u32 s22, s9, s1
	s_lshl_b64 s[14:15], s[10:11], 2
	s_add_u32 s14, s2, s14
	s_addc_u32 s15, s3, s15
	s_add_u32 s14, s14, s21
	v_lshlrev_b32_e32 v2, 5, v0
	s_addc_u32 s15, s15, s22
	s_mov_b32 s23, 0
	v_mov_b32_e32 v3, s15
	v_add_co_u32_e32 v2, vcc, s14, v2
	v_addc_co_u32_e32 v3, vcc, 0, v3, vcc
	s_lshl_b32 s21, s18, 5
	s_mov_b64 s[14:15], 0
	v_mov_b32_e32 v4, s23
	v_mov_b32_e32 v5, v0
.LBB16_10:                              ; =>This Inner Loop Header: Depth=1
	global_load_dwordx4 v[6:9], v[2:3], off
	global_load_dwordx4 v[10:13], v[2:3], off offset:16
	v_add_co_u32_e32 v2, vcc, s21, v2
	v_add_u32_e32 v5, s18, v5
	v_addc_co_u32_e32 v3, vcc, v3, v4, vcc
	v_cmp_le_i32_e32 vcc, s20, v5
	s_or_b64 s[14:15], vcc, s[14:15]
	s_waitcnt vmcnt(1)
	v_fmac_f32_e32 v1, v6, v6
	v_fmac_f32_e32 v1, v7, v7
	v_fmac_f32_e32 v1, v8, v8
	v_fmac_f32_e32 v1, v9, v9
	s_waitcnt vmcnt(0)
	v_fmac_f32_e32 v1, v10, v10
	v_fmac_f32_e32 v1, v11, v11
	;; [unrolled: 1-line block ×4, first 2 shown]
	s_andn2_b64 exec, exec, s[14:15]
	s_cbranch_execnz .LBB16_10
; %bb.11:
	s_or_b64 exec, exec, s[14:15]
.LBB16_12:
	s_or_b64 exec, exec, s[12:13]
	v_lshl_add_u32 v2, s20, 3, v0
	v_cmp_gt_i32_e32 vcc, s19, v2
	s_and_saveexec_b64 s[12:13], vcc
	s_cbranch_execz .LBB16_16
; %bb.13:
	s_add_u32 s14, s8, s0
	s_addc_u32 s15, s9, s1
	s_lshl_b64 s[10:11], s[10:11], 2
	s_add_u32 s10, s14, s10
	s_addc_u32 s11, s15, s11
	v_ashrrev_i32_e32 v3, 31, v2
	s_add_u32 s10, s2, s10
	v_lshlrev_b64 v[4:5], 2, v[2:3]
	s_addc_u32 s11, s3, s11
	v_mov_b32_e32 v3, s11
	v_add_co_u32_e32 v4, vcc, s10, v4
	s_mov_b32 s15, 0
	v_addc_co_u32_e32 v5, vcc, v3, v5, vcc
	s_lshl_b32 s14, s18, 2
	s_mov_b64 s[10:11], 0
	v_mov_b32_e32 v3, s15
.LBB16_14:                              ; =>This Inner Loop Header: Depth=1
	global_load_dword v6, v[4:5], off
	v_add_co_u32_e32 v4, vcc, s14, v4
	v_add_u32_e32 v2, s18, v2
	v_addc_co_u32_e32 v5, vcc, v5, v3, vcc
	v_cmp_le_i32_e32 vcc, s19, v2
	s_or_b64 s[10:11], vcc, s[10:11]
	s_waitcnt vmcnt(0)
	v_fmac_f32_e32 v1, v6, v6
	s_andn2_b64 exec, exec, s[10:11]
	s_cbranch_execnz .LBB16_14
; %bb.15:
	s_or_b64 exec, exec, s[10:11]
.LBB16_16:
	s_or_b64 exec, exec, s[12:13]
	s_branch .LBB16_23
.LBB16_17:
                                        ; implicit-def: $vgpr1
	s_cbranch_execz .LBB16_23
; %bb.18:
	s_ashr_i32 s12, s7, 3
	v_cmp_gt_i32_e32 vcc, s12, v0
	v_mov_b32_e32 v1, 0
	s_and_saveexec_b64 s[10:11], vcc
	s_cbranch_execz .LBB16_22
; %bb.19:
	s_add_u32 s0, s8, s0
	s_addc_u32 s1, s9, s1
	s_add_u32 s0, s2, s0
	v_lshlrev_b32_e32 v1, 5, v0
	s_addc_u32 s1, s3, s1
	s_mov_b32 s8, 0
	v_mov_b32_e32 v3, s1
	v_add_co_u32_e32 v2, vcc, s0, v1
	v_addc_co_u32_e32 v3, vcc, 0, v3, vcc
	s_lshl_b32 s2, s18, 5
	s_mov_b64 s[0:1], 0
	v_mov_b32_e32 v1, 0
	v_mov_b32_e32 v4, s8
	;; [unrolled: 1-line block ×3, first 2 shown]
.LBB16_20:                              ; =>This Inner Loop Header: Depth=1
	global_load_dwordx4 v[6:9], v[2:3], off
	global_load_dwordx4 v[10:13], v[2:3], off offset:16
	v_add_co_u32_e32 v2, vcc, s2, v2
	v_add_u32_e32 v5, s18, v5
	v_addc_co_u32_e32 v3, vcc, v3, v4, vcc
	v_cmp_le_i32_e32 vcc, s12, v5
	s_or_b64 s[0:1], vcc, s[0:1]
	s_waitcnt vmcnt(1)
	v_fmac_f32_e32 v1, v6, v6
	v_fmac_f32_e32 v1, v7, v7
	;; [unrolled: 1-line block ×4, first 2 shown]
	s_waitcnt vmcnt(0)
	v_fmac_f32_e32 v1, v10, v10
	v_fmac_f32_e32 v1, v11, v11
	;; [unrolled: 1-line block ×4, first 2 shown]
	s_andn2_b64 exec, exec, s[0:1]
	s_cbranch_execnz .LBB16_20
; %bb.21:
	s_or_b64 exec, exec, s[0:1]
.LBB16_22:
	s_or_b64 exec, exec, s[10:11]
.LBB16_23:
	v_mbcnt_lo_u32_b32 v2, -1, 0
	v_mbcnt_hi_u32_b32 v2, -1, v2
	v_and_b32_e32 v3, 63, v2
	v_cmp_ne_u32_e32 vcc, 63, v3
	v_addc_co_u32_e32 v4, vcc, 0, v2, vcc
	v_lshlrev_b32_e32 v4, 2, v4
	ds_bpermute_b32 v4, v4, v1
	v_and_b32_e32 v5, 0x3c0, v0
	v_sub_u32_e64 v5, s18, v5 clamp
	v_add_u32_e32 v6, 1, v2
	v_cmp_lt_u32_e32 vcc, v6, v5
	s_waitcnt lgkmcnt(0)
	v_add_f32_e32 v4, v1, v4
	v_cndmask_b32_e32 v1, v1, v4, vcc
	v_cmp_gt_u32_e32 vcc, 62, v3
	v_cndmask_b32_e64 v4, 0, 1, vcc
	v_lshlrev_b32_e32 v4, 1, v4
	v_add_lshl_u32 v4, v4, v2, 2
	ds_bpermute_b32 v4, v4, v1
	v_add_u32_e32 v6, 2, v2
	v_cmp_lt_u32_e32 vcc, v6, v5
	v_add_u32_e32 v6, 4, v2
	s_waitcnt lgkmcnt(0)
	v_add_f32_e32 v4, v1, v4
	v_cndmask_b32_e32 v1, v1, v4, vcc
	v_cmp_gt_u32_e32 vcc, 60, v3
	v_cndmask_b32_e64 v4, 0, 1, vcc
	v_lshlrev_b32_e32 v4, 2, v4
	v_add_lshl_u32 v4, v4, v2, 2
	ds_bpermute_b32 v4, v4, v1
	v_cmp_lt_u32_e32 vcc, v6, v5
	v_add_u32_e32 v6, 8, v2
	s_waitcnt lgkmcnt(0)
	v_add_f32_e32 v4, v1, v4
	v_cndmask_b32_e32 v1, v1, v4, vcc
	v_cmp_gt_u32_e32 vcc, 56, v3
	v_cndmask_b32_e64 v4, 0, 1, vcc
	v_lshlrev_b32_e32 v4, 3, v4
	v_add_lshl_u32 v4, v4, v2, 2
	ds_bpermute_b32 v4, v4, v1
	;; [unrolled: 10-line block ×3, first 2 shown]
	v_cmp_lt_u32_e32 vcc, v6, v5
	s_waitcnt lgkmcnt(0)
	v_add_f32_e32 v4, v1, v4
	v_cndmask_b32_e32 v1, v1, v4, vcc
	v_cmp_gt_u32_e32 vcc, 32, v3
	v_cndmask_b32_e64 v3, 0, 1, vcc
	v_lshlrev_b32_e32 v3, 5, v3
	v_add_lshl_u32 v3, v3, v2, 2
	ds_bpermute_b32 v3, v3, v1
	v_add_u32_e32 v4, 32, v2
	v_cmp_lt_u32_e32 vcc, v4, v5
	s_waitcnt lgkmcnt(0)
	v_add_f32_e32 v3, v1, v3
	v_cndmask_b32_e32 v1, v1, v3, vcc
	v_cmp_eq_u32_e32 vcc, 0, v2
	s_and_saveexec_b64 s[0:1], vcc
	s_cbranch_execz .LBB16_25
; %bb.24:
	v_lshrrev_b32_e32 v3, 4, v0
	v_and_b32_e32 v3, 60, v3
	ds_write_b32 v3, v1
.LBB16_25:
	s_or_b64 exec, exec, s[0:1]
	v_cmp_gt_u32_e32 vcc, 16, v0
	s_waitcnt lgkmcnt(0)
	s_barrier
	s_and_saveexec_b64 s[2:3], vcc
	s_cbranch_execz .LBB16_27
; %bb.26:
	v_lshlrev_b32_e32 v1, 2, v2
	ds_read_b32 v1, v1
	v_and_b32_e32 v3, 15, v2
	v_cmp_ne_u32_e32 vcc, 15, v3
	v_addc_co_u32_e32 v4, vcc, 0, v2, vcc
	v_lshlrev_b32_e32 v4, 2, v4
	s_waitcnt lgkmcnt(0)
	ds_bpermute_b32 v4, v4, v1
	s_add_i32 s0, s18, 63
	s_lshr_b32 s8, s0, 6
	v_add_u32_e32 v5, 1, v3
	v_cmp_gt_u32_e64 s[0:1], 14, v3
	v_cmp_gt_u32_e32 vcc, s8, v5
	v_cndmask_b32_e64 v5, 0, 1, s[0:1]
	s_waitcnt lgkmcnt(0)
	v_add_f32_e32 v4, v1, v4
	v_lshlrev_b32_e32 v5, 1, v5
	v_cndmask_b32_e32 v4, v1, v4, vcc
	v_add_lshl_u32 v5, v5, v2, 2
	ds_bpermute_b32 v5, v5, v4
	v_add_u32_e32 v6, 2, v3
	v_cmp_gt_u32_e64 s[0:1], s8, v6
	v_add_u32_e32 v6, 4, v3
	s_waitcnt lgkmcnt(0)
	v_add_f32_e32 v5, v4, v5
	v_cndmask_b32_e64 v4, v4, v5, s[0:1]
	v_cmp_gt_u32_e64 s[0:1], 12, v3
	v_cndmask_b32_e64 v5, 0, 1, s[0:1]
	v_lshlrev_b32_e32 v5, 2, v5
	v_add_lshl_u32 v5, v5, v2, 2
	ds_bpermute_b32 v5, v5, v4
	v_cmp_gt_u32_e64 s[0:1], s8, v6
	s_waitcnt lgkmcnt(0)
	v_add_f32_e32 v5, v4, v5
	v_cndmask_b32_e64 v4, v4, v5, s[0:1]
	v_cmp_gt_u32_e64 s[0:1], 8, v3
	v_cndmask_b32_e64 v5, 0, 1, s[0:1]
	v_lshlrev_b32_e32 v5, 3, v5
	v_add_lshl_u32 v2, v5, v2, 2
	ds_bpermute_b32 v2, v2, v4
	v_add_u32_e32 v3, 8, v3
	v_cmp_gt_u32_e64 s[0:1], s8, v3
	s_waitcnt lgkmcnt(0)
	v_add_f32_e32 v2, v4, v2
	v_cndmask_b32_e64 v2, v4, v2, s[0:1]
	v_cndmask_b32_e32 v1, v1, v2, vcc
.LBB16_27:
	s_or_b64 exec, exec, s[2:3]
	v_cmp_eq_u32_e32 vcc, 0, v0
	s_and_saveexec_b64 s[0:1], vcc
	s_cbranch_execz .LBB16_29
; %bb.28:
	v_cvt_f32_i32_e32 v2, s7
	s_load_dword s8, s[4:5], 0x40
	v_div_scale_f32 v3, s[2:3], v2, v2, v1
	v_rcp_f32_e32 v4, v3
	v_div_scale_f32 v5, vcc, v1, v2, v1
	s_mov_b32 s2, 0x800000
	v_fma_f32 v6, -v3, v4, 1.0
	v_fmac_f32_e32 v4, v6, v4
	v_mul_f32_e32 v6, v5, v4
	v_fma_f32 v7, -v3, v6, v5
	v_fmac_f32_e32 v6, v7, v4
	v_fma_f32 v3, -v3, v6, v5
	v_div_fmas_f32 v3, v3, v4, v6
	v_div_fixup_f32 v1, v3, v2, v1
	s_waitcnt lgkmcnt(0)
	v_add_f32_e32 v1, s8, v1
	v_mul_f32_e32 v2, 0x4b800000, v1
	v_cmp_gt_f32_e32 vcc, s2, v1
	v_cndmask_b32_e32 v1, v1, v2, vcc
	v_rsq_f32_e32 v1, v1
	v_mul_f32_e32 v2, 0x45800000, v1
	v_cndmask_b32_e32 v1, v1, v2, vcc
	v_mov_b32_e32 v2, 0
	ds_write_b32 v2, v1 offset:64
.LBB16_29:
	s_or_b64 exec, exec, s[0:1]
	s_ashr_i32 s0, s7, 31
	s_lshr_b32 s0, s0, 29
	s_add_i32 s0, s7, s0
	s_ashr_i32 s10, s0, 3
	v_cmp_gt_i32_e32 vcc, s10, v0
	s_waitcnt lgkmcnt(0)
	s_barrier
	s_and_saveexec_b64 s[0:1], vcc
	s_cbranch_execz .LBB16_40
; %bb.30:
	v_cvt_f32_u32_e32 v1, s18
	s_load_dwordx2 s[0:1], s[4:5], 0x0
	s_load_dwordx2 s[2:3], s[4:5], 0x38
	s_mul_i32 s4, s6, s7
	s_mov_b32 s5, 0
	v_rcp_iflag_f32_e32 v1, v1
	v_mov_b32_e32 v2, 0
	s_lshl_b64 s[4:5], s[4:5], 2
	ds_read_b32 v34, v2 offset:64
	v_mul_f32_e32 v1, 0x4f7ffffe, v1
	v_add_u32_e32 v2, s18, v0
	v_cvt_u32_f32_e32 v1, v1
	s_waitcnt lgkmcnt(0)
	s_add_u32 s11, s0, s4
	v_mov_b32_e32 v4, s18
	v_cmp_gt_i32_e32 vcc, s10, v2
	s_addc_u32 s12, s1, s5
	v_max_i32_e32 v3, s10, v2
	v_addc_co_u32_e64 v2, s[0:1], v0, v4, vcc
	s_sub_i32 s0, 0, s18
	v_sub_u32_e32 v2, v3, v2
	v_mul_lo_u32 v3, s0, v1
	v_mul_hi_u32 v3, v1, v3
	v_add_u32_e32 v1, v1, v3
	v_mul_hi_u32 v1, v2, v1
	v_mul_lo_u32 v3, v1, s18
	v_sub_u32_e32 v2, v2, v3
	v_add_u32_e32 v3, 1, v1
	v_cmp_le_u32_e64 s[0:1], s18, v2
	v_cndmask_b32_e64 v1, v1, v3, s[0:1]
	v_subrev_u32_e32 v3, s18, v2
	v_cndmask_b32_e64 v2, v2, v3, s[0:1]
	v_add_u32_e32 v3, 1, v1
	v_cmp_le_u32_e64 s[0:1], s18, v2
	v_cndmask_b32_e64 v1, v1, v3, s[0:1]
	v_addc_co_u32_e32 v44, vcc, 1, v1, vcc
	s_cmp_lg_u32 s18, 1
	v_cmp_gt_u32_e32 vcc, 2, v44
	s_cselect_b64 s[0:1], -1, 0
	s_or_b64 s[0:1], vcc, s[0:1]
	s_mov_b64 s[4:5], 0
	s_and_saveexec_b64 s[6:7], s[0:1]
	s_xor_b64 s[0:1], exec, s[6:7]
	s_cbranch_execnz .LBB16_34
; %bb.31:
	s_andn2_saveexec_b64 s[6:7], s[0:1]
	s_cbranch_execnz .LBB16_35
.LBB16_32:
	s_or_b64 exec, exec, s[6:7]
	s_and_b64 exec, exec, s[4:5]
	s_cbranch_execnz .LBB16_38
	s_branch .LBB16_40
.LBB16_33:
                                        ; implicit-def: $sgpr0_sgpr1
	s_branch .LBB16_2
.LBB16_34:
	s_mov_b64 s[4:5], exec
                                        ; implicit-def: $vgpr44
	s_andn2_saveexec_b64 s[6:7], s[0:1]
	s_cbranch_execz .LBB16_32
.LBB16_35:
	v_and_b32_e32 v45, -2, v44
	v_add_u32_e32 v1, 1, v0
	v_mov_b32_e32 v35, v34
	s_mov_b64 s[8:9], 0
	v_mov_b32_e32 v46, s17
	v_mov_b32_e32 v47, s3
	;; [unrolled: 1-line block ×5, first 2 shown]
	v_pk_mov_b32 v[38:39], v[0:1], v[0:1] op_sel:[0,1]
.LBB16_36:                              ; =>This Inner Loop Header: Depth=1
	v_mov_b32_e32 v36, v38
	v_lshlrev_b64 v[40:41], 5, v[36:37]
	v_add_co_u32_e32 v10, vcc, s16, v40
	v_addc_co_u32_e32 v11, vcc, v46, v41, vcc
	v_mov_b32_e32 v36, v39
	v_add_co_u32_e32 v12, vcc, s2, v40
	v_lshlrev_b64 v[42:43], 5, v[36:37]
	v_addc_co_u32_e32 v13, vcc, v47, v41, vcc
	v_add_co_u32_e32 v50, vcc, s16, v42
	v_addc_co_u32_e32 v51, vcc, v46, v43, vcc
	v_add_co_u32_e32 v52, vcc, s2, v42
	global_load_dwordx4 v[2:5], v[10:11], off offset:16
	global_load_dwordx4 v[14:17], v[10:11], off
	global_load_dwordx4 v[6:9], v[12:13], off offset:16
	global_load_dwordx4 v[26:29], v[12:13], off
	v_addc_co_u32_e32 v53, vcc, v47, v43, vcc
	global_load_dwordx4 v[18:21], v[50:51], off
	global_load_dwordx4 v[10:13], v[50:51], off offset:16
	global_load_dwordx4 v[30:33], v[52:53], off
	global_load_dwordx4 v[22:25], v[52:53], off offset:16
	v_add_u32_e32 v49, -2, v49
	v_cmp_eq_u32_e32 vcc, 0, v49
	v_add_co_u32_e64 v40, s[0:1], s11, v40
	v_add_u32_e32 v38, 2, v38
	v_add_u32_e32 v39, 2, v39
	v_addc_co_u32_e64 v41, s[0:1], v48, v41, s[0:1]
	s_or_b64 s[8:9], vcc, s[8:9]
	v_add_co_u32_e32 v42, vcc, s11, v42
	v_addc_co_u32_e32 v43, vcc, v48, v43, vcc
	s_waitcnt vmcnt(6)
	v_mov_b32_e32 v50, v14
	v_mov_b32_e32 v14, v16
	s_waitcnt vmcnt(3)
	v_mov_b32_e32 v51, v18
	v_mov_b32_e32 v18, v15
	v_mov_b32_e32 v15, v20
	v_mov_b32_e32 v20, v17
	v_mov_b32_e32 v16, v2
	v_mov_b32_e32 v2, v4
	v_mov_b32_e32 v4, v26
	v_mov_b32_e32 v26, v28
	v_mov_b32_e32 v28, v6
	v_mov_b32_e32 v52, v8
	s_waitcnt vmcnt(2)
	v_mov_b32_e32 v17, v10
	v_mov_b32_e32 v10, v3
	v_mov_b32_e32 v3, v12
	v_mov_b32_e32 v12, v5
	s_waitcnt vmcnt(1)
	v_mov_b32_e32 v5, v30
	v_mov_b32_e32 v30, v27
	v_mov_b32_e32 v27, v32
	v_mov_b32_e32 v32, v29
	;; [unrolled: 5-line block ×3, first 2 shown]
	v_pk_mul_f32 v[6:7], v[50:51], v[34:35]
	v_pk_mul_f32 v[8:9], v[18:19], v[34:35]
	v_pk_mul_f32 v[14:15], v[14:15], v[34:35]
	v_pk_mul_f32 v[18:19], v[20:21], v[34:35]
	v_pk_mul_f32 v[16:17], v[16:17], v[34:35]
	v_pk_mul_f32 v[10:11], v[10:11], v[34:35]
	v_pk_mul_f32 v[20:21], v[2:3], v[34:35]
	v_pk_mul_f32 v[12:13], v[12:13], v[34:35]
	v_pk_mul_f32 v[50:51], v[6:7], v[4:5]
	v_pk_mul_f32 v[2:3], v[8:9], v[30:31]
	v_pk_mul_f32 v[14:15], v[14:15], v[26:27]
	v_pk_mul_f32 v[4:5], v[18:19], v[32:33]
	v_pk_mul_f32 v[18:19], v[16:17], v[28:29]
	v_pk_mul_f32 v[6:7], v[10:11], v[22:23]
	v_pk_mul_f32 v[20:21], v[20:21], v[52:53]
	v_pk_mul_f32 v[8:9], v[12:13], v[24:25]
	v_mov_b32_e32 v10, v50
	v_mov_b32_e32 v11, v2
	;; [unrolled: 1-line block ×12, first 2 shown]
	global_store_dwordx4 v[40:41], v[10:13], off
	global_store_dwordx4 v[42:43], v[2:5], off
	global_store_dwordx4 v[40:41], v[14:17], off offset:16
	global_store_dwordx4 v[42:43], v[6:9], off offset:16
	s_andn2_b64 exec, exec, s[8:9]
	s_cbranch_execnz .LBB16_36
; %bb.37:
	s_or_b64 exec, exec, s[8:9]
	v_cmp_ne_u32_e32 vcc, v44, v45
	s_andn2_b64 s[0:1], s[4:5], exec
	s_and_b64 s[4:5], vcc, exec
	v_add_u32_e32 v0, v0, v45
	s_or_b64 s[4:5], s[0:1], s[4:5]
	s_or_b64 exec, exec, s[6:7]
	s_and_b64 exec, exec, s[4:5]
	s_cbranch_execz .LBB16_40
.LBB16_38:
	v_mov_b32_e32 v1, 0
	v_mov_b32_e32 v35, v34
	v_lshlrev_b64 v[2:3], 5, v[0:1]
	s_lshl_b32 s6, s18, 5
	s_mov_b64 s[4:5], 0
.LBB16_39:                              ; =>This Inner Loop Header: Depth=1
	v_mov_b32_e32 v1, s17
	v_add_co_u32_e64 v22, s[0:1], s16, v2
	v_mov_b32_e32 v4, s3
	v_add_co_u32_e32 v20, vcc, s2, v2
	v_addc_co_u32_e64 v23, s[0:1], v1, v3, s[0:1]
	v_addc_co_u32_e32 v21, vcc, v4, v3, vcc
	global_load_dwordx4 v[4:7], v[22:23], off
	global_load_dwordx4 v[8:11], v[22:23], off offset:16
	global_load_dwordx4 v[12:15], v[20:21], off
	global_load_dwordx4 v[16:19], v[20:21], off offset:16
	v_add_co_u32_e32 v20, vcc, s11, v2
	s_add_u32 s11, s11, s6
	v_mov_b32_e32 v1, s12
	s_addc_u32 s12, s12, 0
	s_add_u32 s16, s16, s6
	s_addc_u32 s17, s17, 0
	v_add_u32_e32 v0, s18, v0
	v_addc_co_u32_e32 v21, vcc, v1, v3, vcc
	s_add_u32 s2, s2, s6
	v_cmp_le_i32_e32 vcc, s10, v0
	s_addc_u32 s3, s3, 0
	s_or_b64 s[4:5], vcc, s[4:5]
	s_waitcnt vmcnt(3)
	v_pk_mul_f32 v[4:5], v[4:5], v[34:35]
	v_pk_mul_f32 v[6:7], v[6:7], v[34:35]
	s_waitcnt vmcnt(2)
	v_pk_mul_f32 v[8:9], v[8:9], v[34:35]
	v_pk_mul_f32 v[10:11], v[10:11], v[34:35]
	;; [unrolled: 3-line block ×4, first 2 shown]
	global_store_dwordx4 v[20:21], v[4:7], off
	global_store_dwordx4 v[20:21], v[8:11], off offset:16
	s_andn2_b64 exec, exec, s[4:5]
	s_cbranch_execnz .LBB16_39
.LBB16_40:
	s_endpgm
	.section	.rodata,"a",@progbits
	.p2align	6, 0x0
	.amdhsa_kernel _ZN4vllm15rms_norm_kernelIfLi8ELi3EEEvPT_PKS1_lllllS4_fii
		.amdhsa_group_segment_fixed_size 68
		.amdhsa_private_segment_fixed_size 0
		.amdhsa_kernarg_size 336
		.amdhsa_user_sgpr_count 6
		.amdhsa_user_sgpr_private_segment_buffer 1
		.amdhsa_user_sgpr_dispatch_ptr 0
		.amdhsa_user_sgpr_queue_ptr 0
		.amdhsa_user_sgpr_kernarg_segment_ptr 1
		.amdhsa_user_sgpr_dispatch_id 0
		.amdhsa_user_sgpr_flat_scratch_init 0
		.amdhsa_user_sgpr_kernarg_preload_length 0
		.amdhsa_user_sgpr_kernarg_preload_offset 0
		.amdhsa_user_sgpr_private_segment_size 0
		.amdhsa_uses_dynamic_stack 0
		.amdhsa_system_sgpr_private_segment_wavefront_offset 0
		.amdhsa_system_sgpr_workgroup_id_x 1
		.amdhsa_system_sgpr_workgroup_id_y 0
		.amdhsa_system_sgpr_workgroup_id_z 0
		.amdhsa_system_sgpr_workgroup_info 0
		.amdhsa_system_vgpr_workitem_id 0
		.amdhsa_next_free_vgpr 54
		.amdhsa_next_free_sgpr 24
		.amdhsa_accum_offset 56
		.amdhsa_reserve_vcc 1
		.amdhsa_reserve_flat_scratch 0
		.amdhsa_float_round_mode_32 0
		.amdhsa_float_round_mode_16_64 0
		.amdhsa_float_denorm_mode_32 3
		.amdhsa_float_denorm_mode_16_64 3
		.amdhsa_dx10_clamp 1
		.amdhsa_ieee_mode 1
		.amdhsa_fp16_overflow 0
		.amdhsa_tg_split 0
		.amdhsa_exception_fp_ieee_invalid_op 0
		.amdhsa_exception_fp_denorm_src 0
		.amdhsa_exception_fp_ieee_div_zero 0
		.amdhsa_exception_fp_ieee_overflow 0
		.amdhsa_exception_fp_ieee_underflow 0
		.amdhsa_exception_fp_ieee_inexact 0
		.amdhsa_exception_int_div_zero 0
	.end_amdhsa_kernel
	.section	.text._ZN4vllm15rms_norm_kernelIfLi8ELi3EEEvPT_PKS1_lllllS4_fii,"axG",@progbits,_ZN4vllm15rms_norm_kernelIfLi8ELi3EEEvPT_PKS1_lllllS4_fii,comdat
.Lfunc_end16:
	.size	_ZN4vllm15rms_norm_kernelIfLi8ELi3EEEvPT_PKS1_lllllS4_fii, .Lfunc_end16-_ZN4vllm15rms_norm_kernelIfLi8ELi3EEEvPT_PKS1_lllllS4_fii
                                        ; -- End function
	.section	.AMDGPU.csdata,"",@progbits
; Kernel info:
; codeLenInByte = 3396
; NumSgprs: 28
; NumVgprs: 54
; NumAgprs: 0
; TotalNumVgprs: 54
; ScratchSize: 0
; MemoryBound: 0
; FloatMode: 240
; IeeeMode: 1
; LDSByteSize: 68 bytes/workgroup (compile time only)
; SGPRBlocks: 3
; VGPRBlocks: 6
; NumSGPRsForWavesPerEU: 28
; NumVGPRsForWavesPerEU: 54
; AccumOffset: 56
; Occupancy: 8
; WaveLimiterHint : 0
; COMPUTE_PGM_RSRC2:SCRATCH_EN: 0
; COMPUTE_PGM_RSRC2:USER_SGPR: 6
; COMPUTE_PGM_RSRC2:TRAP_HANDLER: 0
; COMPUTE_PGM_RSRC2:TGID_X_EN: 1
; COMPUTE_PGM_RSRC2:TGID_Y_EN: 0
; COMPUTE_PGM_RSRC2:TGID_Z_EN: 0
; COMPUTE_PGM_RSRC2:TIDIG_COMP_CNT: 0
; COMPUTE_PGM_RSRC3_GFX90A:ACCUM_OFFSET: 13
; COMPUTE_PGM_RSRC3_GFX90A:TG_SPLIT: 0
	.section	.text._ZN4vllm15rms_norm_kernelIfLi4ELi3EEEvPT_PKS1_lllllS4_fii,"axG",@progbits,_ZN4vllm15rms_norm_kernelIfLi4ELi3EEEvPT_PKS1_lllllS4_fii,comdat
	.protected	_ZN4vllm15rms_norm_kernelIfLi4ELi3EEEvPT_PKS1_lllllS4_fii ; -- Begin function _ZN4vllm15rms_norm_kernelIfLi4ELi3EEEvPT_PKS1_lllllS4_fii
	.globl	_ZN4vllm15rms_norm_kernelIfLi4ELi3EEEvPT_PKS1_lllllS4_fii
	.p2align	8
	.type	_ZN4vllm15rms_norm_kernelIfLi4ELi3EEEvPT_PKS1_lllllS4_fii,@function
_ZN4vllm15rms_norm_kernelIfLi4ELi3EEEvPT_PKS1_lllllS4_fii: ; @_ZN4vllm15rms_norm_kernelIfLi4ELi3EEEvPT_PKS1_lllllS4_fii
; %bb.0:
	s_load_dwordx2 s[8:9], s[4:5], 0x28
	s_load_dwordx2 s[2:3], s[4:5], 0x8
	s_mov_b32 s0, 0
	s_waitcnt lgkmcnt(0)
	s_mov_b32 s1, s9
	s_cmp_lg_u64 s[0:1], 0
	s_cbranch_scc0 .LBB17_33
; %bb.1:
	s_ashr_i32 s10, s9, 31
	s_add_u32 s0, s8, s10
	s_mov_b32 s11, s10
	s_addc_u32 s1, s9, s10
	s_xor_b64 s[14:15], s[0:1], s[10:11]
	v_cvt_f32_u32_e32 v1, s14
	v_cvt_f32_u32_e32 v2, s15
	s_sub_u32 s0, 0, s14
	s_subb_u32 s1, 0, s15
	v_madmk_f32 v1, v2, 0x4f800000, v1
	v_rcp_f32_e32 v1, v1
	v_mul_f32_e32 v1, 0x5f7ffffc, v1
	v_mul_f32_e32 v2, 0x2f800000, v1
	v_trunc_f32_e32 v2, v2
	v_madmk_f32 v1, v2, 0xcf800000, v1
	v_cvt_u32_f32_e32 v2, v2
	v_cvt_u32_f32_e32 v1, v1
	v_readfirstlane_b32 s7, v2
	v_readfirstlane_b32 s9, v1
	s_mul_i32 s16, s0, s7
	s_mul_hi_u32 s18, s0, s9
	s_mul_i32 s17, s1, s9
	s_add_i32 s16, s18, s16
	s_add_i32 s16, s16, s17
	s_mul_i32 s19, s0, s9
	s_mul_hi_u32 s17, s9, s16
	s_mul_i32 s18, s9, s16
	s_mul_hi_u32 s9, s9, s19
	s_add_u32 s9, s9, s18
	s_addc_u32 s17, 0, s17
	s_mul_hi_u32 s20, s7, s19
	s_mul_i32 s19, s7, s19
	s_add_u32 s9, s9, s19
	s_mul_hi_u32 s18, s7, s16
	s_addc_u32 s9, s17, s20
	s_addc_u32 s17, s18, 0
	s_mul_i32 s16, s7, s16
	s_add_u32 s9, s9, s16
	s_addc_u32 s16, 0, s17
	v_add_co_u32_e32 v1, vcc, s9, v1
	s_cmp_lg_u64 vcc, 0
	s_addc_u32 s7, s7, s16
	v_readfirstlane_b32 s16, v1
	s_mul_i32 s9, s0, s7
	s_mul_hi_u32 s17, s0, s16
	s_add_i32 s9, s17, s9
	s_mul_i32 s1, s1, s16
	s_add_i32 s9, s9, s1
	s_mul_i32 s0, s0, s16
	s_mul_hi_u32 s17, s7, s0
	s_mul_i32 s18, s7, s0
	s_mul_i32 s20, s16, s9
	s_mul_hi_u32 s0, s16, s0
	s_mul_hi_u32 s19, s16, s9
	s_add_u32 s0, s0, s20
	s_addc_u32 s16, 0, s19
	s_add_u32 s0, s0, s18
	s_mul_hi_u32 s1, s7, s9
	s_addc_u32 s0, s16, s17
	s_addc_u32 s1, s1, 0
	s_mul_i32 s9, s7, s9
	s_add_u32 s0, s0, s9
	s_addc_u32 s1, 0, s1
	v_add_co_u32_e32 v1, vcc, s0, v1
	s_cmp_lg_u64 vcc, 0
	s_addc_u32 s0, s7, s1
	v_readfirstlane_b32 s7, v1
	s_mul_hi_u32 s1, s6, s0
	s_mul_i32 s0, s6, s0
	s_mul_hi_u32 s7, s6, s7
	s_add_u32 s0, s7, s0
	s_addc_u32 s1, 0, s1
	s_add_u32 s0, s0, 0
	s_addc_u32 s0, s1, 0
	s_addc_u32 s1, 0, 0
	s_add_u32 s7, s0, 0
	s_addc_u32 s9, 0, s1
	s_mul_i32 s0, s14, s9
	s_mul_hi_u32 s1, s14, s7
	s_add_i32 s0, s1, s0
	s_mul_i32 s1, s15, s7
	s_add_i32 s16, s0, s1
	s_mul_i32 s1, s14, s7
	v_mov_b32_e32 v1, s1
	s_sub_i32 s0, 0, s16
	v_sub_co_u32_e32 v1, vcc, s6, v1
	s_cmp_lg_u64 vcc, 0
	s_subb_u32 s17, s0, s15
	v_subrev_co_u32_e64 v2, s[0:1], s14, v1
	s_cmp_lg_u64 s[0:1], 0
	s_subb_u32 s0, s17, 0
	s_cmp_ge_u32 s0, s15
	v_readfirstlane_b32 s17, v2
	s_cselect_b32 s1, -1, 0
	s_cmp_ge_u32 s17, s14
	s_cselect_b32 s17, -1, 0
	s_cmp_eq_u32 s0, s15
	s_cselect_b32 s0, s17, s1
	s_add_u32 s1, s7, 1
	s_addc_u32 s17, s9, 0
	s_add_u32 s18, s7, 2
	s_addc_u32 s19, s9, 0
	s_cmp_lg_u32 s0, 0
	s_cselect_b32 s0, s18, s1
	s_cselect_b32 s1, s19, s17
	s_cmp_lg_u64 vcc, 0
	s_subb_u32 s16, 0, s16
	s_cmp_ge_u32 s16, s15
	v_readfirstlane_b32 s18, v1
	s_cselect_b32 s17, -1, 0
	s_cmp_ge_u32 s18, s14
	s_cselect_b32 s14, -1, 0
	s_cmp_eq_u32 s16, s15
	s_cselect_b32 s14, s14, s17
	s_cmp_lg_u32 s14, 0
	s_cselect_b32 s1, s1, s9
	s_cselect_b32 s0, s0, s7
	s_xor_b64 s[0:1], s[0:1], s[10:11]
	s_sub_u32 s0, s0, s10
	s_subb_u32 s1, s1, s10
	s_cbranch_execnz .LBB17_3
.LBB17_2:
	v_cvt_f32_u32_e32 v1, s8
	s_sub_i32 s0, 0, s8
	s_mov_b32 s1, 0
	v_rcp_iflag_f32_e32 v1, v1
	v_mul_f32_e32 v1, 0x4f7ffffe, v1
	v_cvt_u32_f32_e32 v1, v1
	v_readfirstlane_b32 s7, v1
	s_mul_i32 s0, s0, s7
	s_mul_hi_u32 s0, s7, s0
	s_add_i32 s7, s7, s0
	s_mul_hi_u32 s0, s6, s7
	s_mul_i32 s9, s0, s8
	s_sub_i32 s9, s6, s9
	s_add_i32 s7, s0, 1
	s_sub_i32 s10, s9, s8
	s_cmp_ge_u32 s9, s8
	s_cselect_b32 s0, s7, s0
	s_cselect_b32 s9, s10, s9
	s_add_i32 s7, s0, 1
	s_cmp_ge_u32 s9, s8
	s_cselect_b32 s0, s7, s0
.LBB17_3:
	s_load_dwordx4 s[12:15], s[4:5], 0x10
	s_mul_i32 s7, s0, s8
	s_bfe_i64 s[8:9], s[0:1], 0x200000
	s_sub_i32 s10, s6, s7
	s_load_dword s7, s[4:5], 0x48
	s_load_dword s16, s[4:5], 0x5c
	s_waitcnt lgkmcnt(0)
	s_mul_i32 s1, s0, s15
	s_mul_hi_u32 s8, s0, s14
	s_add_i32 s1, s8, s1
	s_mul_i32 s8, s9, s14
	s_add_i32 s1, s1, s8
	s_mul_i32 s0, s0, s14
	s_lshl_b64 s[8:9], s[0:1], 2
	s_add_u32 s14, s2, s8
	s_addc_u32 s15, s3, s9
	s_ashr_i32 s0, s10, 31
	s_mul_i32 s1, s10, s13
	s_mul_hi_u32 s11, s10, s12
	s_add_i32 s1, s11, s1
	s_mul_i32 s0, s0, s12
	s_add_i32 s1, s1, s0
	s_mul_i32 s0, s10, s12
	s_lshl_b64 s[10:11], s[0:1], 2
	s_add_u32 s21, s14, s10
	s_addc_u32 s22, s15, s11
	s_and_b32 s20, s16, 0xffff
	s_and_b32 s0, s21, 15
	s_mov_b32 s1, 0
	s_cmp_lg_u64 s[0:1], 0
	s_cselect_b64 s[0:1], -1, 0
	s_and_b32 s12, s7, 3
	s_cmp_lg_u32 s12, 0
	s_cselect_b64 s[12:13], -1, 0
	s_or_b64 s[0:1], s[12:13], s[0:1]
	s_and_b64 vcc, exec, s[0:1]
	s_cbranch_vccz .LBB17_17
; %bb.4:
	s_sub_i32 s0, 0, s21
	s_bfe_u32 s0, s0, 0x20002
	s_min_i32 s0, s0, s7
	v_cmp_gt_i32_e32 vcc, s0, v0
	v_mov_b32_e32 v1, 0
	s_and_saveexec_b64 s[12:13], vcc
	s_cbranch_execz .LBB17_8
; %bb.5:
	s_add_u32 s1, s10, s8
	s_addc_u32 s14, s11, s9
	s_add_u32 s1, s2, s1
	v_lshlrev_b32_e32 v1, 2, v0
	s_addc_u32 s14, s3, s14
	s_mov_b32 s16, 0
	v_mov_b32_e32 v3, s14
	v_add_co_u32_e32 v2, vcc, s1, v1
	v_addc_co_u32_e32 v3, vcc, 0, v3, vcc
	s_lshl_b32 s1, s20, 2
	s_mov_b64 s[14:15], 0
	v_mov_b32_e32 v1, 0
	v_mov_b32_e32 v4, s16
	;; [unrolled: 1-line block ×3, first 2 shown]
.LBB17_6:                               ; =>This Inner Loop Header: Depth=1
	global_load_dword v6, v[2:3], off
	v_add_co_u32_e32 v2, vcc, s1, v2
	v_add_u32_e32 v5, s20, v5
	v_addc_co_u32_e32 v3, vcc, v3, v4, vcc
	v_cmp_le_i32_e32 vcc, s0, v5
	s_or_b64 s[14:15], vcc, s[14:15]
	s_waitcnt vmcnt(0)
	v_fmac_f32_e32 v1, v6, v6
	s_andn2_b64 exec, exec, s[14:15]
	s_cbranch_execnz .LBB17_6
; %bb.7:
	s_or_b64 exec, exec, s[14:15]
.LBB17_8:
	s_or_b64 exec, exec, s[12:13]
	s_sub_i32 s16, s7, s0
	s_ashr_i32 s12, s16, 31
	s_lshr_b32 s12, s12, 30
	s_add_i32 s12, s16, s12
	s_ashr_i32 s17, s12, 2
	s_ashr_i32 s1, s0, 31
	v_cmp_gt_i32_e32 vcc, s17, v0
	s_and_saveexec_b64 s[12:13], vcc
	s_cbranch_execz .LBB17_12
; %bb.9:
	s_add_u32 s18, s10, s8
	s_addc_u32 s19, s11, s9
	s_lshl_b64 s[14:15], s[0:1], 2
	s_add_u32 s14, s2, s14
	s_addc_u32 s15, s3, s15
	s_add_u32 s14, s14, s18
	v_lshlrev_b32_e32 v2, 4, v0
	s_addc_u32 s15, s15, s19
	s_mov_b32 s23, 0
	v_mov_b32_e32 v3, s15
	v_add_co_u32_e32 v2, vcc, s14, v2
	v_addc_co_u32_e32 v3, vcc, 0, v3, vcc
	s_lshl_b32 s18, s20, 4
	s_mov_b64 s[14:15], 0
	v_mov_b32_e32 v4, s23
	v_mov_b32_e32 v5, v0
.LBB17_10:                              ; =>This Inner Loop Header: Depth=1
	global_load_dwordx4 v[6:9], v[2:3], off
	v_add_co_u32_e32 v2, vcc, s18, v2
	v_add_u32_e32 v5, s20, v5
	v_addc_co_u32_e32 v3, vcc, v3, v4, vcc
	v_cmp_le_i32_e32 vcc, s17, v5
	s_or_b64 s[14:15], vcc, s[14:15]
	s_waitcnt vmcnt(0)
	v_fmac_f32_e32 v1, v6, v6
	v_fmac_f32_e32 v1, v7, v7
	;; [unrolled: 1-line block ×4, first 2 shown]
	s_andn2_b64 exec, exec, s[14:15]
	s_cbranch_execnz .LBB17_10
; %bb.11:
	s_or_b64 exec, exec, s[14:15]
.LBB17_12:
	s_or_b64 exec, exec, s[12:13]
	v_lshl_add_u32 v2, s17, 2, v0
	v_cmp_gt_i32_e32 vcc, s16, v2
	s_and_saveexec_b64 s[12:13], vcc
	s_cbranch_execz .LBB17_16
; %bb.13:
	s_add_u32 s14, s10, s8
	s_addc_u32 s15, s11, s9
	s_lshl_b64 s[0:1], s[0:1], 2
	s_add_u32 s0, s14, s0
	s_addc_u32 s1, s15, s1
	v_ashrrev_i32_e32 v3, 31, v2
	s_add_u32 s0, s2, s0
	v_lshlrev_b64 v[4:5], 2, v[2:3]
	s_addc_u32 s1, s3, s1
	v_mov_b32_e32 v3, s1
	v_add_co_u32_e32 v4, vcc, s0, v4
	s_mov_b32 s15, 0
	v_addc_co_u32_e32 v5, vcc, v3, v5, vcc
	s_lshl_b32 s14, s20, 2
	s_mov_b64 s[0:1], 0
	v_mov_b32_e32 v3, s15
.LBB17_14:                              ; =>This Inner Loop Header: Depth=1
	global_load_dword v6, v[4:5], off
	v_add_co_u32_e32 v4, vcc, s14, v4
	v_add_u32_e32 v2, s20, v2
	v_addc_co_u32_e32 v5, vcc, v5, v3, vcc
	v_cmp_le_i32_e32 vcc, s16, v2
	s_or_b64 s[0:1], vcc, s[0:1]
	s_waitcnt vmcnt(0)
	v_fmac_f32_e32 v1, v6, v6
	s_andn2_b64 exec, exec, s[0:1]
	s_cbranch_execnz .LBB17_14
; %bb.15:
	s_or_b64 exec, exec, s[0:1]
.LBB17_16:
	s_or_b64 exec, exec, s[12:13]
	s_branch .LBB17_23
.LBB17_17:
                                        ; implicit-def: $vgpr1
	s_cbranch_execz .LBB17_23
; %bb.18:
	s_ashr_i32 s14, s7, 2
	v_cmp_gt_i32_e32 vcc, s14, v0
	v_mov_b32_e32 v1, 0
	s_and_saveexec_b64 s[0:1], vcc
	s_cbranch_execz .LBB17_22
; %bb.19:
	s_add_u32 s12, s10, s8
	s_addc_u32 s13, s11, s9
	s_add_u32 s12, s2, s12
	v_lshlrev_b32_e32 v1, 4, v0
	s_addc_u32 s13, s3, s13
	v_mov_b32_e32 v2, s13
	v_add_co_u32_e32 v1, vcc, s12, v1
	v_addc_co_u32_e32 v3, vcc, 0, v2, vcc
	s_mov_b32 s16, 0
	v_add_co_u32_e32 v2, vcc, 8, v1
	v_addc_co_u32_e32 v3, vcc, 0, v3, vcc
	s_lshl_b32 s15, s20, 4
	s_mov_b64 s[12:13], 0
	v_mov_b32_e32 v1, 0
	v_mov_b32_e32 v4, s16
	;; [unrolled: 1-line block ×3, first 2 shown]
.LBB17_20:                              ; =>This Inner Loop Header: Depth=1
	global_load_dwordx4 v[6:9], v[2:3], off offset:-8
	v_add_co_u32_e32 v2, vcc, s15, v2
	v_add_u32_e32 v5, s20, v5
	v_addc_co_u32_e32 v3, vcc, v3, v4, vcc
	v_cmp_le_i32_e32 vcc, s14, v5
	s_or_b64 s[12:13], vcc, s[12:13]
	s_waitcnt vmcnt(0)
	v_fmac_f32_e32 v1, v6, v6
	v_fmac_f32_e32 v1, v7, v7
	;; [unrolled: 1-line block ×4, first 2 shown]
	s_andn2_b64 exec, exec, s[12:13]
	s_cbranch_execnz .LBB17_20
; %bb.21:
	s_or_b64 exec, exec, s[12:13]
.LBB17_22:
	s_or_b64 exec, exec, s[0:1]
.LBB17_23:
	v_mbcnt_lo_u32_b32 v2, -1, 0
	v_mbcnt_hi_u32_b32 v2, -1, v2
	v_and_b32_e32 v3, 63, v2
	v_cmp_ne_u32_e32 vcc, 63, v3
	v_addc_co_u32_e32 v4, vcc, 0, v2, vcc
	v_lshlrev_b32_e32 v4, 2, v4
	ds_bpermute_b32 v4, v4, v1
	v_and_b32_e32 v5, 0x3c0, v0
	v_sub_u32_e64 v5, s20, v5 clamp
	v_add_u32_e32 v6, 1, v2
	v_cmp_lt_u32_e32 vcc, v6, v5
	s_waitcnt lgkmcnt(0)
	v_add_f32_e32 v4, v1, v4
	v_cndmask_b32_e32 v1, v1, v4, vcc
	v_cmp_gt_u32_e32 vcc, 62, v3
	v_cndmask_b32_e64 v4, 0, 1, vcc
	v_lshlrev_b32_e32 v4, 1, v4
	v_add_lshl_u32 v4, v4, v2, 2
	ds_bpermute_b32 v4, v4, v1
	v_add_u32_e32 v6, 2, v2
	v_cmp_lt_u32_e32 vcc, v6, v5
	v_add_u32_e32 v6, 4, v2
	s_waitcnt lgkmcnt(0)
	v_add_f32_e32 v4, v1, v4
	v_cndmask_b32_e32 v1, v1, v4, vcc
	v_cmp_gt_u32_e32 vcc, 60, v3
	v_cndmask_b32_e64 v4, 0, 1, vcc
	v_lshlrev_b32_e32 v4, 2, v4
	v_add_lshl_u32 v4, v4, v2, 2
	ds_bpermute_b32 v4, v4, v1
	v_cmp_lt_u32_e32 vcc, v6, v5
	v_add_u32_e32 v6, 8, v2
	s_waitcnt lgkmcnt(0)
	v_add_f32_e32 v4, v1, v4
	v_cndmask_b32_e32 v1, v1, v4, vcc
	v_cmp_gt_u32_e32 vcc, 56, v3
	v_cndmask_b32_e64 v4, 0, 1, vcc
	v_lshlrev_b32_e32 v4, 3, v4
	v_add_lshl_u32 v4, v4, v2, 2
	ds_bpermute_b32 v4, v4, v1
	;; [unrolled: 10-line block ×3, first 2 shown]
	v_cmp_lt_u32_e32 vcc, v6, v5
	s_waitcnt lgkmcnt(0)
	v_add_f32_e32 v4, v1, v4
	v_cndmask_b32_e32 v1, v1, v4, vcc
	v_cmp_gt_u32_e32 vcc, 32, v3
	v_cndmask_b32_e64 v3, 0, 1, vcc
	v_lshlrev_b32_e32 v3, 5, v3
	v_add_lshl_u32 v3, v3, v2, 2
	ds_bpermute_b32 v3, v3, v1
	v_add_u32_e32 v4, 32, v2
	v_cmp_lt_u32_e32 vcc, v4, v5
	s_waitcnt lgkmcnt(0)
	v_add_f32_e32 v3, v1, v3
	v_cndmask_b32_e32 v1, v1, v3, vcc
	v_cmp_eq_u32_e32 vcc, 0, v2
	s_and_saveexec_b64 s[0:1], vcc
	s_cbranch_execz .LBB17_25
; %bb.24:
	v_lshrrev_b32_e32 v3, 4, v0
	v_and_b32_e32 v3, 60, v3
	ds_write_b32 v3, v1
.LBB17_25:
	s_or_b64 exec, exec, s[0:1]
	v_cmp_gt_u32_e32 vcc, 16, v0
	s_waitcnt lgkmcnt(0)
	s_barrier
	s_and_saveexec_b64 s[12:13], vcc
	s_cbranch_execz .LBB17_27
; %bb.26:
	v_lshlrev_b32_e32 v1, 2, v2
	ds_read_b32 v1, v1
	v_and_b32_e32 v3, 15, v2
	v_cmp_ne_u32_e32 vcc, 15, v3
	v_addc_co_u32_e32 v4, vcc, 0, v2, vcc
	v_lshlrev_b32_e32 v4, 2, v4
	s_waitcnt lgkmcnt(0)
	ds_bpermute_b32 v4, v4, v1
	s_add_i32 s0, s20, 63
	s_lshr_b32 s14, s0, 6
	v_add_u32_e32 v5, 1, v3
	v_cmp_gt_u32_e64 s[0:1], 14, v3
	v_cmp_gt_u32_e32 vcc, s14, v5
	v_cndmask_b32_e64 v5, 0, 1, s[0:1]
	s_waitcnt lgkmcnt(0)
	v_add_f32_e32 v4, v1, v4
	v_lshlrev_b32_e32 v5, 1, v5
	v_cndmask_b32_e32 v4, v1, v4, vcc
	v_add_lshl_u32 v5, v5, v2, 2
	ds_bpermute_b32 v5, v5, v4
	v_add_u32_e32 v6, 2, v3
	v_cmp_gt_u32_e64 s[0:1], s14, v6
	v_add_u32_e32 v6, 4, v3
	s_waitcnt lgkmcnt(0)
	v_add_f32_e32 v5, v4, v5
	v_cndmask_b32_e64 v4, v4, v5, s[0:1]
	v_cmp_gt_u32_e64 s[0:1], 12, v3
	v_cndmask_b32_e64 v5, 0, 1, s[0:1]
	v_lshlrev_b32_e32 v5, 2, v5
	v_add_lshl_u32 v5, v5, v2, 2
	ds_bpermute_b32 v5, v5, v4
	v_cmp_gt_u32_e64 s[0:1], s14, v6
	s_waitcnt lgkmcnt(0)
	v_add_f32_e32 v5, v4, v5
	v_cndmask_b32_e64 v4, v4, v5, s[0:1]
	v_cmp_gt_u32_e64 s[0:1], 8, v3
	v_cndmask_b32_e64 v5, 0, 1, s[0:1]
	v_lshlrev_b32_e32 v5, 3, v5
	v_add_lshl_u32 v2, v5, v2, 2
	ds_bpermute_b32 v2, v2, v4
	v_add_u32_e32 v3, 8, v3
	v_cmp_gt_u32_e64 s[0:1], s14, v3
	s_waitcnt lgkmcnt(0)
	v_add_f32_e32 v2, v4, v2
	v_cndmask_b32_e64 v2, v4, v2, s[0:1]
	v_cndmask_b32_e32 v1, v1, v2, vcc
.LBB17_27:
	s_or_b64 exec, exec, s[12:13]
	v_cmp_eq_u32_e32 vcc, 0, v0
	s_and_saveexec_b64 s[0:1], vcc
	s_cbranch_execz .LBB17_29
; %bb.28:
	v_cvt_f32_i32_e32 v2, s7
	s_load_dword s14, s[4:5], 0x40
	v_div_scale_f32 v3, s[12:13], v2, v2, v1
	v_rcp_f32_e32 v4, v3
	v_div_scale_f32 v5, vcc, v1, v2, v1
	s_mov_b32 s12, 0x800000
	v_fma_f32 v6, -v3, v4, 1.0
	v_fmac_f32_e32 v4, v6, v4
	v_mul_f32_e32 v6, v5, v4
	v_fma_f32 v7, -v3, v6, v5
	v_fmac_f32_e32 v6, v7, v4
	v_fma_f32 v3, -v3, v6, v5
	v_div_fmas_f32 v3, v3, v4, v6
	v_div_fixup_f32 v1, v3, v2, v1
	s_waitcnt lgkmcnt(0)
	v_add_f32_e32 v1, s14, v1
	v_mul_f32_e32 v2, 0x4b800000, v1
	v_cmp_gt_f32_e32 vcc, s12, v1
	v_cndmask_b32_e32 v1, v1, v2, vcc
	v_rsq_f32_e32 v1, v1
	v_mul_f32_e32 v2, 0x45800000, v1
	v_cndmask_b32_e32 v1, v1, v2, vcc
	v_mov_b32_e32 v2, 0
	ds_write_b32 v2, v1 offset:64
.LBB17_29:
	s_or_b64 exec, exec, s[0:1]
	s_ashr_i32 s0, s7, 31
	s_lshr_b32 s0, s0, 30
	s_add_i32 s0, s7, s0
	s_ashr_i32 s23, s0, 2
	v_cmp_gt_i32_e32 vcc, s23, v0
	s_waitcnt lgkmcnt(0)
	s_barrier
	s_and_saveexec_b64 s[0:1], vcc
	s_cbranch_execz .LBB17_40
; %bb.30:
	v_cvt_f32_u32_e32 v1, s20
	v_add_u32_e32 v3, s20, v0
	v_mov_b32_e32 v5, s20
	v_cmp_gt_i32_e32 vcc, s23, v3
	v_rcp_iflag_f32_e32 v1, v1
	v_max_i32_e32 v4, s23, v3
	v_addc_co_u32_e64 v3, s[0:1], v0, v5, vcc
	v_mul_f32_e32 v1, 0x4f7ffffe, v1
	v_cvt_u32_f32_e32 v1, v1
	s_sub_i32 s0, 0, s20
	v_sub_u32_e32 v3, v4, v3
	v_mov_b32_e32 v2, 0
	v_mul_lo_u32 v4, s0, v1
	v_mul_hi_u32 v4, v1, v4
	v_add_u32_e32 v1, v1, v4
	v_mul_hi_u32 v1, v3, v1
	v_mul_lo_u32 v4, v1, s20
	v_sub_u32_e32 v3, v3, v4
	v_add_u32_e32 v4, 1, v1
	v_cmp_le_u32_e64 s[0:1], s20, v3
	v_cndmask_b32_e64 v1, v1, v4, s[0:1]
	v_subrev_u32_e32 v4, s20, v3
	v_cndmask_b32_e64 v3, v3, v4, s[0:1]
	s_load_dwordx2 s[14:15], s[4:5], 0x0
	s_load_dwordx2 s[12:13], s[4:5], 0x38
	ds_read_b32 v2, v2 offset:64
	v_add_u32_e32 v4, 1, v1
	v_cmp_le_u32_e64 s[0:1], s20, v3
	v_cndmask_b32_e64 v1, v1, v4, s[0:1]
	v_addc_co_u32_e32 v8, vcc, 1, v1, vcc
	s_cmp_lg_u32 s20, 1
	v_cmp_gt_u32_e32 vcc, 2, v8
	s_cselect_b64 s[0:1], -1, 0
	s_mul_i32 s4, s6, s7
	s_mov_b32 s5, 0
	s_or_b64 s[0:1], vcc, s[0:1]
	s_mov_b64 s[6:7], 0
	s_and_saveexec_b64 s[16:17], s[0:1]
	s_xor_b64 s[0:1], exec, s[16:17]
	s_cbranch_execnz .LBB17_34
; %bb.31:
	s_andn2_saveexec_b64 s[16:17], s[0:1]
	s_cbranch_execnz .LBB17_35
.LBB17_32:
	s_or_b64 exec, exec, s[16:17]
	s_and_b64 exec, exec, s[6:7]
	s_cbranch_execnz .LBB17_38
	s_branch .LBB17_40
.LBB17_33:
                                        ; implicit-def: $sgpr0_sgpr1
	s_branch .LBB17_2
.LBB17_34:
	s_mov_b64 s[6:7], exec
                                        ; implicit-def: $vgpr8
	s_andn2_saveexec_b64 s[16:17], s[0:1]
	s_cbranch_execz .LBB17_32
.LBB17_35:
	s_lshl_b64 s[0:1], s[4:5], 2
	s_waitcnt lgkmcnt(0)
	s_add_u32 s24, s14, s0
	s_addc_u32 s0, s15, s1
	v_and_b32_e32 v9, -2, v8
	v_add_u32_e32 v1, 1, v0
	v_mov_b32_e32 v3, v2
	s_mov_b64 s[18:19], 0
	v_mov_b32_e32 v10, s22
	v_mov_b32_e32 v11, s13
	;; [unrolled: 1-line block ×5, first 2 shown]
	v_pk_mov_b32 v[6:7], v[0:1], v[0:1] op_sel:[0,1]
.LBB17_36:                              ; =>This Inner Loop Header: Depth=1
	v_mov_b32_e32 v4, v6
	v_lshlrev_b64 v[30:31], 4, v[4:5]
	v_add_co_u32_e32 v22, vcc, s21, v30
	v_addc_co_u32_e32 v23, vcc, v10, v31, vcc
	v_mov_b32_e32 v4, v7
	v_add_co_u32_e32 v24, vcc, s12, v30
	v_lshlrev_b64 v[32:33], 4, v[4:5]
	v_addc_co_u32_e32 v25, vcc, v11, v31, vcc
	v_add_co_u32_e32 v34, vcc, s21, v32
	v_addc_co_u32_e32 v35, vcc, v10, v33, vcc
	v_add_co_u32_e32 v36, vcc, s12, v32
	global_load_dwordx4 v[14:17], v[22:23], off
	global_load_dwordx4 v[18:21], v[24:25], off
	v_addc_co_u32_e32 v37, vcc, v11, v33, vcc
	global_load_dwordx4 v[22:25], v[34:35], off
	global_load_dwordx4 v[26:29], v[36:37], off
	v_add_u32_e32 v13, -2, v13
	v_cmp_eq_u32_e32 vcc, 0, v13
	v_add_co_u32_e64 v30, s[0:1], s24, v30
	v_add_u32_e32 v6, 2, v6
	v_add_u32_e32 v7, 2, v7
	v_addc_co_u32_e64 v31, s[0:1], v12, v31, s[0:1]
	s_or_b64 s[18:19], vcc, s[18:19]
	v_add_co_u32_e32 v32, vcc, s24, v32
	v_addc_co_u32_e32 v33, vcc, v12, v33, vcc
	s_waitcnt vmcnt(3)
	v_mov_b32_e32 v34, v14
	v_mov_b32_e32 v14, v16
	s_waitcnt vmcnt(2)
	v_mov_b32_e32 v16, v18
	s_waitcnt vmcnt(1)
	v_mov_b32_e32 v35, v22
	v_mov_b32_e32 v22, v15
	;; [unrolled: 1-line block ×5, first 2 shown]
	s_waitcnt vmcnt(0)
	v_mov_b32_e32 v17, v26
	v_mov_b32_e32 v26, v19
	;; [unrolled: 1-line block ×4, first 2 shown]
	v_pk_mul_f32 v[20:21], v[34:35], v[2:3]
	v_pk_mul_f32 v[22:23], v[22:23], v[2:3]
	;; [unrolled: 1-line block ×8, first 2 shown]
	v_mov_b32_e32 v18, v36
	v_mov_b32_e32 v19, v14
	;; [unrolled: 1-line block ×6, first 2 shown]
	global_store_dwordx4 v[30:31], v[18:21], off
	global_store_dwordx4 v[32:33], v[14:17], off
	s_andn2_b64 exec, exec, s[18:19]
	s_cbranch_execnz .LBB17_36
; %bb.37:
	s_or_b64 exec, exec, s[18:19]
	v_cmp_ne_u32_e32 vcc, v8, v9
	s_andn2_b64 s[0:1], s[6:7], exec
	s_and_b64 s[6:7], vcc, exec
	v_add_u32_e32 v0, v0, v9
	s_or_b64 s[6:7], s[0:1], s[6:7]
	s_or_b64 exec, exec, s[16:17]
	s_and_b64 exec, exec, s[6:7]
	s_cbranch_execz .LBB17_40
.LBB17_38:
	s_lshl_b64 s[0:1], s[4:5], 2
	v_mov_b32_e32 v1, 0
	s_waitcnt lgkmcnt(0)
	s_add_u32 s0, s14, s0
	v_lshlrev_b64 v[8:9], 4, v[0:1]
	s_addc_u32 s1, s15, s1
	s_lshl_b32 s6, s20, 4
	v_add_co_u32_e32 v1, vcc, s0, v8
	s_add_u32 s0, s10, s8
	v_mov_b32_e32 v4, s1
	s_addc_u32 s1, s11, s9
	s_add_u32 s0, s2, s0
	v_addc_co_u32_e32 v4, vcc, v4, v9, vcc
	s_addc_u32 s1, s3, s1
	v_mov_b32_e32 v5, s1
	v_add_co_u32_e32 v6, vcc, s0, v8
	v_addc_co_u32_e32 v7, vcc, v5, v9, vcc
	v_add_co_u32_e32 v5, vcc, 8, v6
	v_addc_co_u32_e32 v6, vcc, 0, v7, vcc
	v_mov_b32_e32 v7, s13
	v_add_co_u32_e32 v8, vcc, s12, v8
	v_addc_co_u32_e32 v9, vcc, v9, v7, vcc
	v_add_co_u32_e32 v7, vcc, 8, v8
	v_mov_b32_e32 v3, v2
	v_addc_co_u32_e32 v8, vcc, 0, v9, vcc
	s_mov_b64 s[2:3], 0
	s_mov_b64 s[4:5], 0
.LBB17_39:                              ; =>This Inner Loop Header: Depth=1
	v_mov_b32_e32 v9, s5
	v_add_co_u32_e64 v20, s[0:1], s4, v5
	v_add_co_u32_e32 v18, vcc, s4, v7
	v_addc_co_u32_e64 v21, s[0:1], v6, v9, s[0:1]
	v_addc_co_u32_e32 v19, vcc, v8, v9, vcc
	global_load_dwordx4 v[10:13], v[20:21], off offset:-8
	global_load_dwordx4 v[14:17], v[18:19], off offset:-8
	v_add_co_u32_e32 v18, vcc, s4, v1
	v_add_u32_e32 v0, s20, v0
	s_add_u32 s4, s4, s6
	v_addc_co_u32_e32 v19, vcc, v4, v9, vcc
	s_addc_u32 s5, s5, 0
	v_cmp_le_i32_e32 vcc, s23, v0
	s_or_b64 s[2:3], vcc, s[2:3]
	s_waitcnt vmcnt(1)
	v_pk_mul_f32 v[10:11], v[10:11], v[2:3]
	v_pk_mul_f32 v[12:13], v[12:13], v[2:3]
	s_waitcnt vmcnt(0)
	v_pk_mul_f32 v[10:11], v[10:11], v[14:15]
	v_pk_mul_f32 v[12:13], v[12:13], v[16:17]
	global_store_dwordx4 v[18:19], v[10:13], off
	s_andn2_b64 exec, exec, s[2:3]
	s_cbranch_execnz .LBB17_39
.LBB17_40:
	s_endpgm
	.section	.rodata,"a",@progbits
	.p2align	6, 0x0
	.amdhsa_kernel _ZN4vllm15rms_norm_kernelIfLi4ELi3EEEvPT_PKS1_lllllS4_fii
		.amdhsa_group_segment_fixed_size 68
		.amdhsa_private_segment_fixed_size 0
		.amdhsa_kernarg_size 336
		.amdhsa_user_sgpr_count 6
		.amdhsa_user_sgpr_private_segment_buffer 1
		.amdhsa_user_sgpr_dispatch_ptr 0
		.amdhsa_user_sgpr_queue_ptr 0
		.amdhsa_user_sgpr_kernarg_segment_ptr 1
		.amdhsa_user_sgpr_dispatch_id 0
		.amdhsa_user_sgpr_flat_scratch_init 0
		.amdhsa_user_sgpr_kernarg_preload_length 0
		.amdhsa_user_sgpr_kernarg_preload_offset 0
		.amdhsa_user_sgpr_private_segment_size 0
		.amdhsa_uses_dynamic_stack 0
		.amdhsa_system_sgpr_private_segment_wavefront_offset 0
		.amdhsa_system_sgpr_workgroup_id_x 1
		.amdhsa_system_sgpr_workgroup_id_y 0
		.amdhsa_system_sgpr_workgroup_id_z 0
		.amdhsa_system_sgpr_workgroup_info 0
		.amdhsa_system_vgpr_workitem_id 0
		.amdhsa_next_free_vgpr 38
		.amdhsa_next_free_sgpr 25
		.amdhsa_accum_offset 40
		.amdhsa_reserve_vcc 1
		.amdhsa_reserve_flat_scratch 0
		.amdhsa_float_round_mode_32 0
		.amdhsa_float_round_mode_16_64 0
		.amdhsa_float_denorm_mode_32 3
		.amdhsa_float_denorm_mode_16_64 3
		.amdhsa_dx10_clamp 1
		.amdhsa_ieee_mode 1
		.amdhsa_fp16_overflow 0
		.amdhsa_tg_split 0
		.amdhsa_exception_fp_ieee_invalid_op 0
		.amdhsa_exception_fp_denorm_src 0
		.amdhsa_exception_fp_ieee_div_zero 0
		.amdhsa_exception_fp_ieee_overflow 0
		.amdhsa_exception_fp_ieee_underflow 0
		.amdhsa_exception_fp_ieee_inexact 0
		.amdhsa_exception_int_div_zero 0
	.end_amdhsa_kernel
	.section	.text._ZN4vllm15rms_norm_kernelIfLi4ELi3EEEvPT_PKS1_lllllS4_fii,"axG",@progbits,_ZN4vllm15rms_norm_kernelIfLi4ELi3EEEvPT_PKS1_lllllS4_fii,comdat
.Lfunc_end17:
	.size	_ZN4vllm15rms_norm_kernelIfLi4ELi3EEEvPT_PKS1_lllllS4_fii, .Lfunc_end17-_ZN4vllm15rms_norm_kernelIfLi4ELi3EEEvPT_PKS1_lllllS4_fii
                                        ; -- End function
	.section	.AMDGPU.csdata,"",@progbits
; Kernel info:
; codeLenInByte = 3160
; NumSgprs: 29
; NumVgprs: 38
; NumAgprs: 0
; TotalNumVgprs: 38
; ScratchSize: 0
; MemoryBound: 0
; FloatMode: 240
; IeeeMode: 1
; LDSByteSize: 68 bytes/workgroup (compile time only)
; SGPRBlocks: 3
; VGPRBlocks: 4
; NumSGPRsForWavesPerEU: 29
; NumVGPRsForWavesPerEU: 38
; AccumOffset: 40
; Occupancy: 8
; WaveLimiterHint : 0
; COMPUTE_PGM_RSRC2:SCRATCH_EN: 0
; COMPUTE_PGM_RSRC2:USER_SGPR: 6
; COMPUTE_PGM_RSRC2:TRAP_HANDLER: 0
; COMPUTE_PGM_RSRC2:TGID_X_EN: 1
; COMPUTE_PGM_RSRC2:TGID_Y_EN: 0
; COMPUTE_PGM_RSRC2:TGID_Z_EN: 0
; COMPUTE_PGM_RSRC2:TIDIG_COMP_CNT: 0
; COMPUTE_PGM_RSRC3_GFX90A:ACCUM_OFFSET: 9
; COMPUTE_PGM_RSRC3_GFX90A:TG_SPLIT: 0
	.section	.text._ZN4vllm15rms_norm_kernelIfLi2ELi3EEEvPT_PKS1_lllllS4_fii,"axG",@progbits,_ZN4vllm15rms_norm_kernelIfLi2ELi3EEEvPT_PKS1_lllllS4_fii,comdat
	.protected	_ZN4vllm15rms_norm_kernelIfLi2ELi3EEEvPT_PKS1_lllllS4_fii ; -- Begin function _ZN4vllm15rms_norm_kernelIfLi2ELi3EEEvPT_PKS1_lllllS4_fii
	.globl	_ZN4vllm15rms_norm_kernelIfLi2ELi3EEEvPT_PKS1_lllllS4_fii
	.p2align	8
	.type	_ZN4vllm15rms_norm_kernelIfLi2ELi3EEEvPT_PKS1_lllllS4_fii,@function
_ZN4vllm15rms_norm_kernelIfLi2ELi3EEEvPT_PKS1_lllllS4_fii: ; @_ZN4vllm15rms_norm_kernelIfLi2ELi3EEEvPT_PKS1_lllllS4_fii
; %bb.0:
	s_load_dwordx2 s[2:3], s[4:5], 0x28
	s_load_dwordx2 s[8:9], s[4:5], 0x8
	s_mov_b32 s0, 0
	s_waitcnt lgkmcnt(0)
	s_mov_b32 s1, s3
	s_cmp_lg_u64 s[0:1], 0
	s_cbranch_scc0 .LBB18_32
; %bb.1:
	s_ashr_i32 s10, s3, 31
	s_add_u32 s0, s2, s10
	s_mov_b32 s11, s10
	s_addc_u32 s1, s3, s10
	s_xor_b64 s[14:15], s[0:1], s[10:11]
	v_cvt_f32_u32_e32 v1, s14
	v_cvt_f32_u32_e32 v2, s15
	s_sub_u32 s0, 0, s14
	s_subb_u32 s1, 0, s15
	v_madmk_f32 v1, v2, 0x4f800000, v1
	v_rcp_f32_e32 v1, v1
	v_mul_f32_e32 v1, 0x5f7ffffc, v1
	v_mul_f32_e32 v2, 0x2f800000, v1
	v_trunc_f32_e32 v2, v2
	v_madmk_f32 v1, v2, 0xcf800000, v1
	v_cvt_u32_f32_e32 v2, v2
	v_cvt_u32_f32_e32 v1, v1
	v_readfirstlane_b32 s3, v2
	v_readfirstlane_b32 s7, v1
	s_mul_i32 s16, s0, s3
	s_mul_hi_u32 s18, s0, s7
	s_mul_i32 s17, s1, s7
	s_add_i32 s16, s18, s16
	s_add_i32 s16, s16, s17
	s_mul_i32 s19, s0, s7
	s_mul_hi_u32 s17, s7, s16
	s_mul_i32 s18, s7, s16
	s_mul_hi_u32 s7, s7, s19
	s_add_u32 s7, s7, s18
	s_addc_u32 s17, 0, s17
	s_mul_hi_u32 s20, s3, s19
	s_mul_i32 s19, s3, s19
	s_add_u32 s7, s7, s19
	s_mul_hi_u32 s18, s3, s16
	s_addc_u32 s7, s17, s20
	s_addc_u32 s17, s18, 0
	s_mul_i32 s16, s3, s16
	s_add_u32 s7, s7, s16
	s_addc_u32 s16, 0, s17
	v_add_co_u32_e32 v1, vcc, s7, v1
	s_cmp_lg_u64 vcc, 0
	s_addc_u32 s3, s3, s16
	v_readfirstlane_b32 s16, v1
	s_mul_i32 s7, s0, s3
	s_mul_hi_u32 s17, s0, s16
	s_add_i32 s7, s17, s7
	s_mul_i32 s1, s1, s16
	s_add_i32 s7, s7, s1
	s_mul_i32 s0, s0, s16
	s_mul_hi_u32 s17, s3, s0
	s_mul_i32 s18, s3, s0
	s_mul_i32 s20, s16, s7
	s_mul_hi_u32 s0, s16, s0
	s_mul_hi_u32 s19, s16, s7
	s_add_u32 s0, s0, s20
	s_addc_u32 s16, 0, s19
	s_add_u32 s0, s0, s18
	s_mul_hi_u32 s1, s3, s7
	s_addc_u32 s0, s16, s17
	s_addc_u32 s1, s1, 0
	s_mul_i32 s7, s3, s7
	s_add_u32 s0, s0, s7
	s_addc_u32 s1, 0, s1
	v_add_co_u32_e32 v1, vcc, s0, v1
	s_cmp_lg_u64 vcc, 0
	s_addc_u32 s0, s3, s1
	v_readfirstlane_b32 s3, v1
	s_mul_hi_u32 s1, s6, s0
	s_mul_i32 s0, s6, s0
	s_mul_hi_u32 s3, s6, s3
	s_add_u32 s0, s3, s0
	s_addc_u32 s1, 0, s1
	s_add_u32 s0, s0, 0
	s_addc_u32 s0, s1, 0
	s_addc_u32 s1, 0, 0
	s_add_u32 s3, s0, 0
	s_addc_u32 s7, 0, s1
	s_mul_i32 s0, s14, s7
	s_mul_hi_u32 s1, s14, s3
	s_add_i32 s0, s1, s0
	s_mul_i32 s1, s15, s3
	s_add_i32 s16, s0, s1
	s_mul_i32 s1, s14, s3
	v_mov_b32_e32 v1, s1
	s_sub_i32 s0, 0, s16
	v_sub_co_u32_e32 v1, vcc, s6, v1
	s_cmp_lg_u64 vcc, 0
	s_subb_u32 s17, s0, s15
	v_subrev_co_u32_e64 v2, s[0:1], s14, v1
	s_cmp_lg_u64 s[0:1], 0
	s_subb_u32 s0, s17, 0
	s_cmp_ge_u32 s0, s15
	v_readfirstlane_b32 s17, v2
	s_cselect_b32 s1, -1, 0
	s_cmp_ge_u32 s17, s14
	s_cselect_b32 s17, -1, 0
	s_cmp_eq_u32 s0, s15
	s_cselect_b32 s0, s17, s1
	s_add_u32 s1, s3, 1
	s_addc_u32 s17, s7, 0
	s_add_u32 s18, s3, 2
	s_addc_u32 s19, s7, 0
	s_cmp_lg_u32 s0, 0
	s_cselect_b32 s0, s18, s1
	s_cselect_b32 s1, s19, s17
	s_cmp_lg_u64 vcc, 0
	s_subb_u32 s16, 0, s16
	s_cmp_ge_u32 s16, s15
	v_readfirstlane_b32 s18, v1
	s_cselect_b32 s17, -1, 0
	s_cmp_ge_u32 s18, s14
	s_cselect_b32 s14, -1, 0
	s_cmp_eq_u32 s16, s15
	s_cselect_b32 s14, s14, s17
	s_cmp_lg_u32 s14, 0
	s_cselect_b32 s1, s1, s7
	s_cselect_b32 s0, s0, s3
	s_xor_b64 s[0:1], s[0:1], s[10:11]
	s_sub_u32 s0, s0, s10
	s_subb_u32 s1, s1, s10
	s_cbranch_execnz .LBB18_3
.LBB18_2:
	v_cvt_f32_u32_e32 v1, s2
	s_sub_i32 s0, 0, s2
	s_mov_b32 s1, 0
	v_rcp_iflag_f32_e32 v1, v1
	v_mul_f32_e32 v1, 0x4f7ffffe, v1
	v_cvt_u32_f32_e32 v1, v1
	v_readfirstlane_b32 s3, v1
	s_mul_i32 s0, s0, s3
	s_mul_hi_u32 s0, s3, s0
	s_add_i32 s3, s3, s0
	s_mul_hi_u32 s0, s6, s3
	s_mul_i32 s7, s0, s2
	s_sub_i32 s7, s6, s7
	s_add_i32 s3, s0, 1
	s_sub_i32 s10, s7, s2
	s_cmp_ge_u32 s7, s2
	s_cselect_b32 s0, s3, s0
	s_cselect_b32 s7, s10, s7
	s_add_i32 s3, s0, 1
	s_cmp_ge_u32 s7, s2
	s_cselect_b32 s0, s3, s0
.LBB18_3:
	s_load_dwordx4 s[12:15], s[4:5], 0x10
	s_mul_i32 s2, s0, s2
	s_sub_i32 s10, s6, s2
	s_bfe_i64 s[2:3], s[0:1], 0x200000
	s_load_dword s7, s[4:5], 0x48
	s_load_dword s16, s[4:5], 0x5c
	s_waitcnt lgkmcnt(0)
	s_mul_i32 s1, s0, s15
	s_mul_hi_u32 s2, s0, s14
	s_add_i32 s1, s2, s1
	s_mul_i32 s2, s3, s14
	s_add_i32 s1, s1, s2
	s_mul_i32 s0, s0, s14
	s_lshl_b64 s[0:1], s[0:1], 2
	s_add_u32 s14, s8, s0
	s_addc_u32 s15, s9, s1
	s_ashr_i32 s2, s10, 31
	s_mul_i32 s3, s10, s13
	s_mul_hi_u32 s11, s10, s12
	s_add_i32 s3, s11, s3
	s_mul_i32 s2, s2, s12
	s_add_i32 s3, s3, s2
	s_mul_i32 s2, s10, s12
	s_lshl_b64 s[10:11], s[2:3], 2
	s_add_u32 s2, s14, s10
	s_addc_u32 s3, s15, s11
	s_and_b32 s18, s16, 0xffff
	s_and_b32 s12, s2, 7
	s_mov_b32 s13, 0
	s_cmp_lg_u64 s[12:13], 0
	s_cselect_b64 s[12:13], -1, 0
	s_bitcmp1_b32 s7, 0
	s_cselect_b64 s[14:15], -1, 0
	s_or_b64 s[12:13], s[14:15], s[12:13]
	s_and_b64 vcc, exec, s[12:13]
	s_cbranch_vccz .LBB18_16
; %bb.4:
	s_sub_i32 s12, 0, s2
	s_bfe_u32 s12, s12, 0x10002
	s_min_i32 s12, s12, s7
	v_cmp_gt_i32_e32 vcc, s12, v0
	v_mov_b32_e32 v1, 0
	s_and_saveexec_b64 s[14:15], vcc
	s_cbranch_execz .LBB18_7
; %bb.5:
	s_lshl_b32 s13, s18, 2
	s_mov_b32 s19, 0
	v_mov_b32_e32 v1, 0
	s_mov_b64 s[16:17], s[2:3]
.LBB18_6:                               ; =>This Inner Loop Header: Depth=1
	s_load_dword s20, s[16:17], 0x0
	s_add_i32 s19, s19, s18
	s_add_u32 s16, s16, s13
	s_addc_u32 s17, s17, 0
	s_cmp_ge_i32 s19, s12
	s_waitcnt lgkmcnt(0)
	v_fmac_f32_e64 v1, s20, s20
	s_cbranch_scc0 .LBB18_6
.LBB18_7:
	s_or_b64 exec, exec, s[14:15]
	s_sub_i32 s19, s7, s12
	s_lshr_b32 s14, s19, 31
	s_add_i32 s14, s19, s14
	s_ashr_i32 s20, s14, 1
	s_ashr_i32 s13, s12, 31
	v_cmp_gt_i32_e32 vcc, s20, v0
	s_and_saveexec_b64 s[14:15], vcc
	s_cbranch_execz .LBB18_11
; %bb.8:
	s_add_u32 s21, s10, s0
	s_addc_u32 s22, s11, s1
	s_lshl_b64 s[16:17], s[12:13], 2
	s_add_u32 s16, s8, s16
	s_addc_u32 s17, s9, s17
	s_add_u32 s16, s16, s21
	v_lshlrev_b32_e32 v2, 3, v0
	s_addc_u32 s17, s17, s22
	v_mov_b32_e32 v3, s17
	v_add_co_u32_e32 v2, vcc, s16, v2
	v_addc_co_u32_e32 v3, vcc, 0, v3, vcc
	s_mov_b32 s23, 0
	v_add_co_u32_e32 v2, vcc, 4, v2
	v_addc_co_u32_e32 v3, vcc, 0, v3, vcc
	s_lshl_b32 s21, s18, 3
	s_mov_b64 s[16:17], 0
	v_mov_b32_e32 v4, s23
	v_mov_b32_e32 v5, v0
.LBB18_9:                               ; =>This Inner Loop Header: Depth=1
	global_load_dwordx2 v[6:7], v[2:3], off offset:-4
	v_add_co_u32_e32 v2, vcc, s21, v2
	v_add_u32_e32 v5, s18, v5
	v_addc_co_u32_e32 v3, vcc, v3, v4, vcc
	v_cmp_le_i32_e32 vcc, s20, v5
	s_or_b64 s[16:17], vcc, s[16:17]
	s_waitcnt vmcnt(0)
	v_fmac_f32_e32 v1, v6, v6
	v_fmac_f32_e32 v1, v7, v7
	s_andn2_b64 exec, exec, s[16:17]
	s_cbranch_execnz .LBB18_9
; %bb.10:
	s_or_b64 exec, exec, s[16:17]
.LBB18_11:
	s_or_b64 exec, exec, s[14:15]
	v_lshl_add_u32 v2, s20, 1, v0
	v_cmp_gt_i32_e32 vcc, s19, v2
	s_and_saveexec_b64 s[14:15], vcc
	s_cbranch_execz .LBB18_15
; %bb.12:
	s_add_u32 s16, s10, s0
	s_addc_u32 s17, s11, s1
	s_lshl_b64 s[12:13], s[12:13], 2
	s_add_u32 s12, s16, s12
	s_addc_u32 s13, s17, s13
	v_ashrrev_i32_e32 v3, 31, v2
	s_add_u32 s12, s8, s12
	v_lshlrev_b64 v[4:5], 2, v[2:3]
	s_addc_u32 s13, s9, s13
	v_mov_b32_e32 v3, s13
	v_add_co_u32_e32 v4, vcc, s12, v4
	s_mov_b32 s17, 0
	v_addc_co_u32_e32 v5, vcc, v3, v5, vcc
	s_lshl_b32 s16, s18, 2
	s_mov_b64 s[12:13], 0
	v_mov_b32_e32 v3, s17
.LBB18_13:                              ; =>This Inner Loop Header: Depth=1
	global_load_dword v6, v[4:5], off
	v_add_co_u32_e32 v4, vcc, s16, v4
	v_add_u32_e32 v2, s18, v2
	v_addc_co_u32_e32 v5, vcc, v5, v3, vcc
	v_cmp_le_i32_e32 vcc, s19, v2
	s_or_b64 s[12:13], vcc, s[12:13]
	s_waitcnt vmcnt(0)
	v_fmac_f32_e32 v1, v6, v6
	s_andn2_b64 exec, exec, s[12:13]
	s_cbranch_execnz .LBB18_13
; %bb.14:
	s_or_b64 exec, exec, s[12:13]
.LBB18_15:
	s_or_b64 exec, exec, s[14:15]
	s_branch .LBB18_22
.LBB18_16:
                                        ; implicit-def: $vgpr1
	s_cbranch_execz .LBB18_22
; %bb.17:
	s_ashr_i32 s14, s7, 1
	v_cmp_gt_i32_e32 vcc, s14, v0
	v_mov_b32_e32 v1, 0
	s_and_saveexec_b64 s[12:13], vcc
	s_cbranch_execz .LBB18_21
; %bb.18:
	s_add_u32 s0, s10, s0
	s_addc_u32 s1, s11, s1
	s_add_u32 s0, s8, s0
	v_lshlrev_b32_e32 v1, 3, v0
	s_addc_u32 s1, s9, s1
	v_mov_b32_e32 v2, s1
	v_add_co_u32_e32 v1, vcc, s0, v1
	v_addc_co_u32_e32 v3, vcc, 0, v2, vcc
	s_mov_b32 s10, 0
	v_add_co_u32_e32 v2, vcc, 4, v1
	v_addc_co_u32_e32 v3, vcc, 0, v3, vcc
	s_lshl_b32 s8, s18, 3
	s_mov_b64 s[0:1], 0
	v_mov_b32_e32 v1, 0
	v_mov_b32_e32 v4, s10
	;; [unrolled: 1-line block ×3, first 2 shown]
.LBB18_19:                              ; =>This Inner Loop Header: Depth=1
	global_load_dwordx2 v[6:7], v[2:3], off offset:-4
	v_add_co_u32_e32 v2, vcc, s8, v2
	v_add_u32_e32 v5, s18, v5
	v_addc_co_u32_e32 v3, vcc, v3, v4, vcc
	v_cmp_le_i32_e32 vcc, s14, v5
	s_or_b64 s[0:1], vcc, s[0:1]
	s_waitcnt vmcnt(0)
	v_fmac_f32_e32 v1, v6, v6
	v_fmac_f32_e32 v1, v7, v7
	s_andn2_b64 exec, exec, s[0:1]
	s_cbranch_execnz .LBB18_19
; %bb.20:
	s_or_b64 exec, exec, s[0:1]
.LBB18_21:
	s_or_b64 exec, exec, s[12:13]
.LBB18_22:
	v_mbcnt_lo_u32_b32 v2, -1, 0
	v_mbcnt_hi_u32_b32 v2, -1, v2
	v_and_b32_e32 v3, 63, v2
	v_cmp_ne_u32_e32 vcc, 63, v3
	v_addc_co_u32_e32 v4, vcc, 0, v2, vcc
	v_lshlrev_b32_e32 v4, 2, v4
	ds_bpermute_b32 v4, v4, v1
	v_and_b32_e32 v5, 0x3c0, v0
	v_sub_u32_e64 v5, s18, v5 clamp
	v_add_u32_e32 v6, 1, v2
	v_cmp_lt_u32_e32 vcc, v6, v5
	s_waitcnt lgkmcnt(0)
	v_add_f32_e32 v4, v1, v4
	v_cndmask_b32_e32 v1, v1, v4, vcc
	v_cmp_gt_u32_e32 vcc, 62, v3
	v_cndmask_b32_e64 v4, 0, 1, vcc
	v_lshlrev_b32_e32 v4, 1, v4
	v_add_lshl_u32 v4, v4, v2, 2
	ds_bpermute_b32 v4, v4, v1
	v_add_u32_e32 v6, 2, v2
	v_cmp_lt_u32_e32 vcc, v6, v5
	v_add_u32_e32 v6, 4, v2
	s_waitcnt lgkmcnt(0)
	v_add_f32_e32 v4, v1, v4
	v_cndmask_b32_e32 v1, v1, v4, vcc
	v_cmp_gt_u32_e32 vcc, 60, v3
	v_cndmask_b32_e64 v4, 0, 1, vcc
	v_lshlrev_b32_e32 v4, 2, v4
	v_add_lshl_u32 v4, v4, v2, 2
	ds_bpermute_b32 v4, v4, v1
	v_cmp_lt_u32_e32 vcc, v6, v5
	v_add_u32_e32 v6, 8, v2
	s_waitcnt lgkmcnt(0)
	v_add_f32_e32 v4, v1, v4
	v_cndmask_b32_e32 v1, v1, v4, vcc
	v_cmp_gt_u32_e32 vcc, 56, v3
	v_cndmask_b32_e64 v4, 0, 1, vcc
	v_lshlrev_b32_e32 v4, 3, v4
	v_add_lshl_u32 v4, v4, v2, 2
	ds_bpermute_b32 v4, v4, v1
	;; [unrolled: 10-line block ×3, first 2 shown]
	v_cmp_lt_u32_e32 vcc, v6, v5
	s_waitcnt lgkmcnt(0)
	v_add_f32_e32 v4, v1, v4
	v_cndmask_b32_e32 v1, v1, v4, vcc
	v_cmp_gt_u32_e32 vcc, 32, v3
	v_cndmask_b32_e64 v3, 0, 1, vcc
	v_lshlrev_b32_e32 v3, 5, v3
	v_add_lshl_u32 v3, v3, v2, 2
	ds_bpermute_b32 v3, v3, v1
	v_add_u32_e32 v4, 32, v2
	v_cmp_lt_u32_e32 vcc, v4, v5
	s_waitcnt lgkmcnt(0)
	v_add_f32_e32 v3, v1, v3
	v_cndmask_b32_e32 v1, v1, v3, vcc
	v_cmp_eq_u32_e32 vcc, 0, v2
	s_and_saveexec_b64 s[0:1], vcc
	s_cbranch_execz .LBB18_24
; %bb.23:
	v_lshrrev_b32_e32 v3, 4, v0
	v_and_b32_e32 v3, 60, v3
	ds_write_b32 v3, v1
.LBB18_24:
	s_or_b64 exec, exec, s[0:1]
	v_cmp_gt_u32_e32 vcc, 16, v0
	s_waitcnt lgkmcnt(0)
	s_barrier
	s_and_saveexec_b64 s[8:9], vcc
	s_cbranch_execz .LBB18_26
; %bb.25:
	v_lshlrev_b32_e32 v1, 2, v2
	ds_read_b32 v1, v1
	v_and_b32_e32 v3, 15, v2
	v_cmp_ne_u32_e32 vcc, 15, v3
	v_addc_co_u32_e32 v4, vcc, 0, v2, vcc
	v_lshlrev_b32_e32 v4, 2, v4
	s_waitcnt lgkmcnt(0)
	ds_bpermute_b32 v4, v4, v1
	s_add_i32 s0, s18, 63
	s_lshr_b32 s10, s0, 6
	v_add_u32_e32 v5, 1, v3
	v_cmp_gt_u32_e64 s[0:1], 14, v3
	v_cmp_gt_u32_e32 vcc, s10, v5
	v_cndmask_b32_e64 v5, 0, 1, s[0:1]
	s_waitcnt lgkmcnt(0)
	v_add_f32_e32 v4, v1, v4
	v_lshlrev_b32_e32 v5, 1, v5
	v_cndmask_b32_e32 v4, v1, v4, vcc
	v_add_lshl_u32 v5, v5, v2, 2
	ds_bpermute_b32 v5, v5, v4
	v_add_u32_e32 v6, 2, v3
	v_cmp_gt_u32_e64 s[0:1], s10, v6
	v_add_u32_e32 v6, 4, v3
	s_waitcnt lgkmcnt(0)
	v_add_f32_e32 v5, v4, v5
	v_cndmask_b32_e64 v4, v4, v5, s[0:1]
	v_cmp_gt_u32_e64 s[0:1], 12, v3
	v_cndmask_b32_e64 v5, 0, 1, s[0:1]
	v_lshlrev_b32_e32 v5, 2, v5
	v_add_lshl_u32 v5, v5, v2, 2
	ds_bpermute_b32 v5, v5, v4
	v_cmp_gt_u32_e64 s[0:1], s10, v6
	s_waitcnt lgkmcnt(0)
	v_add_f32_e32 v5, v4, v5
	v_cndmask_b32_e64 v4, v4, v5, s[0:1]
	v_cmp_gt_u32_e64 s[0:1], 8, v3
	v_cndmask_b32_e64 v5, 0, 1, s[0:1]
	v_lshlrev_b32_e32 v5, 3, v5
	v_add_lshl_u32 v2, v5, v2, 2
	ds_bpermute_b32 v2, v2, v4
	v_add_u32_e32 v3, 8, v3
	v_cmp_gt_u32_e64 s[0:1], s10, v3
	s_waitcnt lgkmcnt(0)
	v_add_f32_e32 v2, v4, v2
	v_cndmask_b32_e64 v2, v4, v2, s[0:1]
	v_cndmask_b32_e32 v1, v1, v2, vcc
.LBB18_26:
	s_or_b64 exec, exec, s[8:9]
	v_cmp_eq_u32_e32 vcc, 0, v0
	s_and_saveexec_b64 s[0:1], vcc
	s_cbranch_execz .LBB18_28
; %bb.27:
	v_cvt_f32_i32_e32 v2, s7
	s_load_dword s10, s[4:5], 0x40
	v_div_scale_f32 v3, s[8:9], v2, v2, v1
	v_rcp_f32_e32 v4, v3
	v_div_scale_f32 v5, vcc, v1, v2, v1
	s_mov_b32 s8, 0x800000
	v_fma_f32 v6, -v3, v4, 1.0
	v_fmac_f32_e32 v4, v6, v4
	v_mul_f32_e32 v6, v5, v4
	v_fma_f32 v7, -v3, v6, v5
	v_fmac_f32_e32 v6, v7, v4
	v_fma_f32 v3, -v3, v6, v5
	v_div_fmas_f32 v3, v3, v4, v6
	v_div_fixup_f32 v1, v3, v2, v1
	s_waitcnt lgkmcnt(0)
	v_add_f32_e32 v1, s10, v1
	v_mul_f32_e32 v2, 0x4b800000, v1
	v_cmp_gt_f32_e32 vcc, s8, v1
	v_cndmask_b32_e32 v1, v1, v2, vcc
	v_rsq_f32_e32 v1, v1
	v_mul_f32_e32 v2, 0x45800000, v1
	v_cndmask_b32_e32 v1, v1, v2, vcc
	v_mov_b32_e32 v2, 0
	ds_write_b32 v2, v1 offset:64
.LBB18_28:
	s_or_b64 exec, exec, s[0:1]
	s_lshr_b32 s0, s7, 31
	s_add_i32 s0, s7, s0
	s_ashr_i32 s12, s0, 1
	v_cmp_gt_i32_e32 vcc, s12, v0
	s_waitcnt lgkmcnt(0)
	s_barrier
	s_and_saveexec_b64 s[0:1], vcc
	s_cbranch_execz .LBB18_39
; %bb.29:
	v_cvt_f32_u32_e32 v1, s18
	s_load_dwordx2 s[0:1], s[4:5], 0x0
	s_load_dwordx2 s[8:9], s[4:5], 0x38
	s_mul_i32 s4, s6, s7
	s_mov_b32 s5, 0
	v_rcp_iflag_f32_e32 v1, v1
	s_lshl_b64 s[4:5], s[4:5], 2
	v_add_u32_e32 v3, s18, v0
	s_waitcnt lgkmcnt(0)
	s_add_u32 s13, s0, s4
	v_mul_f32_e32 v1, 0x4f7ffffe, v1
	v_cvt_u32_f32_e32 v1, v1
	v_mov_b32_e32 v5, s18
	v_cmp_gt_i32_e32 vcc, s12, v3
	s_addc_u32 s14, s1, s5
	v_max_i32_e32 v4, s12, v3
	v_addc_co_u32_e64 v3, s[0:1], v0, v5, vcc
	s_sub_i32 s0, 0, s18
	v_sub_u32_e32 v3, v4, v3
	v_mul_lo_u32 v4, s0, v1
	v_mul_hi_u32 v4, v1, v4
	v_add_u32_e32 v1, v1, v4
	v_mul_hi_u32 v1, v3, v1
	v_mul_lo_u32 v4, v1, s18
	v_sub_u32_e32 v3, v3, v4
	v_add_u32_e32 v4, 1, v1
	v_cmp_le_u32_e64 s[0:1], s18, v3
	v_cndmask_b32_e64 v1, v1, v4, s[0:1]
	v_subrev_u32_e32 v4, s18, v3
	v_mov_b32_e32 v2, 0
	v_cndmask_b32_e64 v3, v3, v4, s[0:1]
	ds_read_b32 v2, v2 offset:64
	v_add_u32_e32 v4, 1, v1
	v_cmp_le_u32_e64 s[0:1], s18, v3
	v_cndmask_b32_e64 v1, v1, v4, s[0:1]
	v_addc_co_u32_e32 v8, vcc, 1, v1, vcc
	s_cmp_lg_u32 s18, 1
	v_cmp_gt_u32_e32 vcc, 2, v8
	s_cselect_b64 s[0:1], -1, 0
	s_or_b64 s[0:1], vcc, s[0:1]
	s_mov_b64 s[4:5], 0
	s_and_saveexec_b64 s[6:7], s[0:1]
	s_xor_b64 s[0:1], exec, s[6:7]
	s_cbranch_execnz .LBB18_33
; %bb.30:
	s_andn2_saveexec_b64 s[6:7], s[0:1]
	s_cbranch_execnz .LBB18_34
.LBB18_31:
	s_or_b64 exec, exec, s[6:7]
	s_and_b64 exec, exec, s[4:5]
	s_cbranch_execnz .LBB18_37
	s_branch .LBB18_39
.LBB18_32:
                                        ; implicit-def: $sgpr0_sgpr1
	s_branch .LBB18_2
.LBB18_33:
	s_mov_b64 s[4:5], exec
                                        ; implicit-def: $vgpr8
	s_andn2_saveexec_b64 s[6:7], s[0:1]
	s_cbranch_execz .LBB18_31
.LBB18_34:
	v_and_b32_e32 v9, -2, v8
	v_add_u32_e32 v1, 1, v0
	s_waitcnt lgkmcnt(0)
	v_mov_b32_e32 v3, v2
	s_mov_b64 s[10:11], 0
	v_mov_b32_e32 v10, s3
	v_mov_b32_e32 v11, s9
	;; [unrolled: 1-line block ×5, first 2 shown]
	v_pk_mov_b32 v[6:7], v[0:1], v[0:1] op_sel:[0,1]
.LBB18_35:                              ; =>This Inner Loop Header: Depth=1
	v_mov_b32_e32 v4, v6
	v_lshlrev_b64 v[14:15], 3, v[4:5]
	v_add_co_u32_e32 v16, vcc, s2, v14
	v_addc_co_u32_e32 v17, vcc, v10, v15, vcc
	v_mov_b32_e32 v4, v7
	v_add_co_u32_e32 v20, vcc, s8, v14
	v_lshlrev_b64 v[18:19], 3, v[4:5]
	v_addc_co_u32_e32 v21, vcc, v11, v15, vcc
	v_add_co_u32_e32 v22, vcc, s2, v18
	v_addc_co_u32_e32 v23, vcc, v10, v19, vcc
	v_add_co_u32_e32 v24, vcc, s8, v18
	v_addc_co_u32_e32 v25, vcc, v11, v19, vcc
	global_load_dwordx2 v[26:27], v[16:17], off
	global_load_dwordx2 v[28:29], v[20:21], off
	global_load_dwordx2 v[30:31], v[22:23], off
	global_load_dwordx2 v[32:33], v[24:25], off
	v_add_u32_e32 v13, -2, v13
	v_cmp_eq_u32_e32 vcc, 0, v13
	s_or_b64 s[10:11], vcc, s[10:11]
	v_add_co_u32_e32 v16, vcc, s13, v18
	v_addc_co_u32_e32 v17, vcc, v12, v19, vcc
	v_add_co_u32_e64 v14, s[0:1], s13, v14
	v_add_u32_e32 v6, 2, v6
	v_add_u32_e32 v7, 2, v7
	v_addc_co_u32_e64 v15, s[0:1], v12, v15, s[0:1]
	s_waitcnt vmcnt(3)
	v_mov_b32_e32 v18, v26
	s_waitcnt vmcnt(2)
	v_mov_b32_e32 v20, v28
	;; [unrolled: 2-line block ×3, first 2 shown]
	v_mov_b32_e32 v30, v27
	s_waitcnt vmcnt(0)
	v_mov_b32_e32 v21, v32
	v_mov_b32_e32 v32, v29
	v_pk_mul_f32 v[18:19], v[18:19], v[2:3]
	v_pk_mul_f32 v[22:23], v[30:31], v[2:3]
	;; [unrolled: 1-line block ×4, first 2 shown]
	v_mov_b32_e32 v22, v18
	v_mov_b32_e32 v23, v20
	;; [unrolled: 1-line block ×3, first 2 shown]
	global_store_dwordx2 v[14:15], v[22:23], off
	global_store_dwordx2 v[16:17], v[20:21], off
	s_andn2_b64 exec, exec, s[10:11]
	s_cbranch_execnz .LBB18_35
; %bb.36:
	s_or_b64 exec, exec, s[10:11]
	v_cmp_ne_u32_e32 vcc, v8, v9
	s_andn2_b64 s[0:1], s[4:5], exec
	s_and_b64 s[4:5], vcc, exec
	v_add_u32_e32 v0, v0, v9
	s_or_b64 s[4:5], s[0:1], s[4:5]
	s_or_b64 exec, exec, s[6:7]
	s_and_b64 exec, exec, s[4:5]
	s_cbranch_execz .LBB18_39
.LBB18_37:
	s_mov_b32 s5, 0
	v_mov_b32_e32 v1, 0
	s_waitcnt lgkmcnt(0)
	v_mov_b32_e32 v3, v2
	v_lshlrev_b64 v[4:5], 3, v[0:1]
	s_lshl_b32 s4, s18, 3
	s_mov_b64 s[0:1], 0
	v_mov_b32_e32 v1, s3
	v_mov_b32_e32 v6, s9
	;; [unrolled: 1-line block ×4, first 2 shown]
.LBB18_38:                              ; =>This Inner Loop Header: Depth=1
	v_add_co_u32_e32 v10, vcc, s2, v4
	v_addc_co_u32_e32 v11, vcc, v1, v5, vcc
	v_add_co_u32_e32 v12, vcc, s8, v4
	v_addc_co_u32_e32 v13, vcc, v6, v5, vcc
	global_load_dwordx2 v[14:15], v[10:11], off
	global_load_dwordx2 v[16:17], v[12:13], off
	v_add_co_u32_e32 v10, vcc, s13, v4
	v_addc_co_u32_e32 v11, vcc, v7, v5, vcc
	v_add_co_u32_e32 v4, vcc, s4, v4
	v_add_u32_e32 v0, s18, v0
	v_addc_co_u32_e32 v5, vcc, v5, v8, vcc
	v_cmp_le_i32_e32 vcc, s12, v0
	s_or_b64 s[0:1], vcc, s[0:1]
	s_waitcnt vmcnt(1)
	v_pk_mul_f32 v[12:13], v[14:15], v[2:3]
	s_waitcnt vmcnt(0)
	v_pk_mul_f32 v[12:13], v[12:13], v[16:17]
	global_store_dwordx2 v[10:11], v[12:13], off
	s_andn2_b64 exec, exec, s[0:1]
	s_cbranch_execnz .LBB18_38
.LBB18_39:
	s_endpgm
	.section	.rodata,"a",@progbits
	.p2align	6, 0x0
	.amdhsa_kernel _ZN4vllm15rms_norm_kernelIfLi2ELi3EEEvPT_PKS1_lllllS4_fii
		.amdhsa_group_segment_fixed_size 68
		.amdhsa_private_segment_fixed_size 0
		.amdhsa_kernarg_size 336
		.amdhsa_user_sgpr_count 6
		.amdhsa_user_sgpr_private_segment_buffer 1
		.amdhsa_user_sgpr_dispatch_ptr 0
		.amdhsa_user_sgpr_queue_ptr 0
		.amdhsa_user_sgpr_kernarg_segment_ptr 1
		.amdhsa_user_sgpr_dispatch_id 0
		.amdhsa_user_sgpr_flat_scratch_init 0
		.amdhsa_user_sgpr_kernarg_preload_length 0
		.amdhsa_user_sgpr_kernarg_preload_offset 0
		.amdhsa_user_sgpr_private_segment_size 0
		.amdhsa_uses_dynamic_stack 0
		.amdhsa_system_sgpr_private_segment_wavefront_offset 0
		.amdhsa_system_sgpr_workgroup_id_x 1
		.amdhsa_system_sgpr_workgroup_id_y 0
		.amdhsa_system_sgpr_workgroup_id_z 0
		.amdhsa_system_sgpr_workgroup_info 0
		.amdhsa_system_vgpr_workitem_id 0
		.amdhsa_next_free_vgpr 34
		.amdhsa_next_free_sgpr 24
		.amdhsa_accum_offset 36
		.amdhsa_reserve_vcc 1
		.amdhsa_reserve_flat_scratch 0
		.amdhsa_float_round_mode_32 0
		.amdhsa_float_round_mode_16_64 0
		.amdhsa_float_denorm_mode_32 3
		.amdhsa_float_denorm_mode_16_64 3
		.amdhsa_dx10_clamp 1
		.amdhsa_ieee_mode 1
		.amdhsa_fp16_overflow 0
		.amdhsa_tg_split 0
		.amdhsa_exception_fp_ieee_invalid_op 0
		.amdhsa_exception_fp_denorm_src 0
		.amdhsa_exception_fp_ieee_div_zero 0
		.amdhsa_exception_fp_ieee_overflow 0
		.amdhsa_exception_fp_ieee_underflow 0
		.amdhsa_exception_fp_ieee_inexact 0
		.amdhsa_exception_int_div_zero 0
	.end_amdhsa_kernel
	.section	.text._ZN4vllm15rms_norm_kernelIfLi2ELi3EEEvPT_PKS1_lllllS4_fii,"axG",@progbits,_ZN4vllm15rms_norm_kernelIfLi2ELi3EEEvPT_PKS1_lllllS4_fii,comdat
.Lfunc_end18:
	.size	_ZN4vllm15rms_norm_kernelIfLi2ELi3EEEvPT_PKS1_lllllS4_fii, .Lfunc_end18-_ZN4vllm15rms_norm_kernelIfLi2ELi3EEEvPT_PKS1_lllllS4_fii
                                        ; -- End function
	.section	.AMDGPU.csdata,"",@progbits
; Kernel info:
; codeLenInByte = 2936
; NumSgprs: 28
; NumVgprs: 34
; NumAgprs: 0
; TotalNumVgprs: 34
; ScratchSize: 0
; MemoryBound: 0
; FloatMode: 240
; IeeeMode: 1
; LDSByteSize: 68 bytes/workgroup (compile time only)
; SGPRBlocks: 3
; VGPRBlocks: 4
; NumSGPRsForWavesPerEU: 28
; NumVGPRsForWavesPerEU: 34
; AccumOffset: 36
; Occupancy: 8
; WaveLimiterHint : 0
; COMPUTE_PGM_RSRC2:SCRATCH_EN: 0
; COMPUTE_PGM_RSRC2:USER_SGPR: 6
; COMPUTE_PGM_RSRC2:TRAP_HANDLER: 0
; COMPUTE_PGM_RSRC2:TGID_X_EN: 1
; COMPUTE_PGM_RSRC2:TGID_Y_EN: 0
; COMPUTE_PGM_RSRC2:TGID_Z_EN: 0
; COMPUTE_PGM_RSRC2:TIDIG_COMP_CNT: 0
; COMPUTE_PGM_RSRC3_GFX90A:ACCUM_OFFSET: 8
; COMPUTE_PGM_RSRC3_GFX90A:TG_SPLIT: 0
	.section	.text._ZN4vllm15rms_norm_kernelIfLi1ELi3EEEvPT_PKS1_lllllS4_fii,"axG",@progbits,_ZN4vllm15rms_norm_kernelIfLi1ELi3EEEvPT_PKS1_lllllS4_fii,comdat
	.protected	_ZN4vllm15rms_norm_kernelIfLi1ELi3EEEvPT_PKS1_lllllS4_fii ; -- Begin function _ZN4vllm15rms_norm_kernelIfLi1ELi3EEEvPT_PKS1_lllllS4_fii
	.globl	_ZN4vllm15rms_norm_kernelIfLi1ELi3EEEvPT_PKS1_lllllS4_fii
	.p2align	8
	.type	_ZN4vllm15rms_norm_kernelIfLi1ELi3EEEvPT_PKS1_lllllS4_fii,@function
_ZN4vllm15rms_norm_kernelIfLi1ELi3EEEvPT_PKS1_lllllS4_fii: ; @_ZN4vllm15rms_norm_kernelIfLi1ELi3EEEvPT_PKS1_lllllS4_fii
; %bb.0:
	s_load_dwordx2 s[8:9], s[4:5], 0x28
	s_load_dwordx2 s[2:3], s[4:5], 0x8
	s_mov_b32 s0, 0
	s_waitcnt lgkmcnt(0)
	s_mov_b32 s1, s9
	s_cmp_lg_u64 s[0:1], 0
	s_cbranch_scc0 .LBB19_9
; %bb.1:
	s_ashr_i32 s10, s9, 31
	s_add_u32 s0, s8, s10
	s_mov_b32 s11, s10
	s_addc_u32 s1, s9, s10
	s_xor_b64 s[14:15], s[0:1], s[10:11]
	v_cvt_f32_u32_e32 v1, s14
	v_cvt_f32_u32_e32 v2, s15
	s_sub_u32 s0, 0, s14
	s_subb_u32 s1, 0, s15
	v_madmk_f32 v1, v2, 0x4f800000, v1
	v_rcp_f32_e32 v1, v1
	v_mul_f32_e32 v1, 0x5f7ffffc, v1
	v_mul_f32_e32 v2, 0x2f800000, v1
	v_trunc_f32_e32 v2, v2
	v_madmk_f32 v1, v2, 0xcf800000, v1
	v_cvt_u32_f32_e32 v2, v2
	v_cvt_u32_f32_e32 v1, v1
	v_readfirstlane_b32 s7, v2
	v_readfirstlane_b32 s9, v1
	s_mul_i32 s16, s0, s7
	s_mul_hi_u32 s18, s0, s9
	s_mul_i32 s17, s1, s9
	s_add_i32 s16, s18, s16
	s_add_i32 s16, s16, s17
	s_mul_i32 s19, s0, s9
	s_mul_hi_u32 s17, s9, s16
	s_mul_i32 s18, s9, s16
	s_mul_hi_u32 s9, s9, s19
	s_add_u32 s9, s9, s18
	s_addc_u32 s17, 0, s17
	s_mul_hi_u32 s20, s7, s19
	s_mul_i32 s19, s7, s19
	s_add_u32 s9, s9, s19
	s_mul_hi_u32 s18, s7, s16
	s_addc_u32 s9, s17, s20
	s_addc_u32 s17, s18, 0
	s_mul_i32 s16, s7, s16
	s_add_u32 s9, s9, s16
	s_addc_u32 s16, 0, s17
	v_add_co_u32_e32 v1, vcc, s9, v1
	s_cmp_lg_u64 vcc, 0
	s_addc_u32 s7, s7, s16
	v_readfirstlane_b32 s16, v1
	s_mul_i32 s9, s0, s7
	s_mul_hi_u32 s17, s0, s16
	s_add_i32 s9, s17, s9
	s_mul_i32 s1, s1, s16
	s_add_i32 s9, s9, s1
	s_mul_i32 s0, s0, s16
	s_mul_hi_u32 s17, s7, s0
	s_mul_i32 s18, s7, s0
	s_mul_i32 s20, s16, s9
	s_mul_hi_u32 s0, s16, s0
	s_mul_hi_u32 s19, s16, s9
	s_add_u32 s0, s0, s20
	s_addc_u32 s16, 0, s19
	s_add_u32 s0, s0, s18
	s_mul_hi_u32 s1, s7, s9
	s_addc_u32 s0, s16, s17
	s_addc_u32 s1, s1, 0
	s_mul_i32 s9, s7, s9
	s_add_u32 s0, s0, s9
	s_addc_u32 s1, 0, s1
	v_add_co_u32_e32 v1, vcc, s0, v1
	s_cmp_lg_u64 vcc, 0
	s_addc_u32 s0, s7, s1
	v_readfirstlane_b32 s7, v1
	s_mul_hi_u32 s1, s6, s0
	s_mul_i32 s0, s6, s0
	s_mul_hi_u32 s7, s6, s7
	s_add_u32 s0, s7, s0
	s_addc_u32 s1, 0, s1
	s_add_u32 s0, s0, 0
	s_addc_u32 s0, s1, 0
	s_addc_u32 s1, 0, 0
	s_add_u32 s7, s0, 0
	s_addc_u32 s9, 0, s1
	s_mul_i32 s0, s14, s9
	s_mul_hi_u32 s1, s14, s7
	s_add_i32 s0, s1, s0
	s_mul_i32 s1, s15, s7
	s_add_i32 s16, s0, s1
	s_mul_i32 s1, s14, s7
	v_mov_b32_e32 v1, s1
	s_sub_i32 s0, 0, s16
	v_sub_co_u32_e32 v1, vcc, s6, v1
	s_cmp_lg_u64 vcc, 0
	s_subb_u32 s17, s0, s15
	v_subrev_co_u32_e64 v2, s[0:1], s14, v1
	s_cmp_lg_u64 s[0:1], 0
	s_subb_u32 s0, s17, 0
	s_cmp_ge_u32 s0, s15
	v_readfirstlane_b32 s17, v2
	s_cselect_b32 s1, -1, 0
	s_cmp_ge_u32 s17, s14
	s_cselect_b32 s17, -1, 0
	s_cmp_eq_u32 s0, s15
	s_cselect_b32 s0, s17, s1
	s_add_u32 s1, s7, 1
	s_addc_u32 s17, s9, 0
	s_add_u32 s18, s7, 2
	s_addc_u32 s19, s9, 0
	s_cmp_lg_u32 s0, 0
	s_cselect_b32 s0, s18, s1
	s_cselect_b32 s1, s19, s17
	s_cmp_lg_u64 vcc, 0
	s_subb_u32 s16, 0, s16
	s_cmp_ge_u32 s16, s15
	v_readfirstlane_b32 s18, v1
	s_cselect_b32 s17, -1, 0
	s_cmp_ge_u32 s18, s14
	s_cselect_b32 s14, -1, 0
	s_cmp_eq_u32 s16, s15
	s_cselect_b32 s14, s14, s17
	s_cmp_lg_u32 s14, 0
	s_cselect_b32 s1, s1, s9
	s_cselect_b32 s0, s0, s7
	s_xor_b64 s[0:1], s[0:1], s[10:11]
	s_sub_u32 s0, s0, s10
	s_subb_u32 s1, s1, s10
	s_cbranch_execnz .LBB19_3
.LBB19_2:
	v_cvt_f32_u32_e32 v1, s8
	s_sub_i32 s0, 0, s8
	s_mov_b32 s1, 0
	v_rcp_iflag_f32_e32 v1, v1
	v_mul_f32_e32 v1, 0x4f7ffffe, v1
	v_cvt_u32_f32_e32 v1, v1
	v_readfirstlane_b32 s7, v1
	s_mul_i32 s0, s0, s7
	s_mul_hi_u32 s0, s7, s0
	s_add_i32 s7, s7, s0
	s_mul_hi_u32 s0, s6, s7
	s_mul_i32 s9, s0, s8
	s_sub_i32 s9, s6, s9
	s_add_i32 s7, s0, 1
	s_sub_i32 s10, s9, s8
	s_cmp_ge_u32 s9, s8
	s_cselect_b32 s0, s7, s0
	s_cselect_b32 s9, s10, s9
	s_add_i32 s7, s0, 1
	s_cmp_ge_u32 s9, s8
	s_cselect_b32 s0, s7, s0
.LBB19_3:
	s_load_dwordx4 s[12:15], s[4:5], 0x10
	s_mul_i32 s7, s0, s8
	s_bfe_i64 s[8:9], s[0:1], 0x200000
	s_sub_i32 s10, s6, s7
	s_load_dword s7, s[4:5], 0x48
	s_load_dword s17, s[4:5], 0x5c
	s_waitcnt lgkmcnt(0)
	s_mul_i32 s1, s0, s15
	s_mul_hi_u32 s8, s0, s14
	s_add_i32 s1, s8, s1
	s_mul_i32 s8, s9, s14
	s_add_i32 s1, s1, s8
	s_mul_i32 s0, s0, s14
	s_lshl_b64 s[8:9], s[0:1], 2
	s_add_u32 s14, s2, s8
	s_addc_u32 s15, s3, s9
	s_ashr_i32 s0, s10, 31
	s_mul_i32 s1, s10, s13
	s_mul_hi_u32 s11, s10, s12
	s_add_i32 s1, s11, s1
	s_mul_i32 s0, s0, s12
	s_add_i32 s1, s1, s0
	s_mul_i32 s0, s10, s12
	s_lshl_b64 s[10:11], s[0:1], 2
	s_add_u32 s14, s14, s10
	s_addc_u32 s16, s15, s11
	s_and_b32 s15, s17, 0xffff
	s_and_b32 s0, s14, 3
	s_mov_b32 s1, 0
	s_cmp_lg_u64 s[0:1], 0
	s_cbranch_scc0 .LBB19_10
; %bb.4:
	s_min_i32 s12, s7, 0
	s_sub_i32 s17, s7, s12
	v_cmp_gt_i32_e32 vcc, s17, v0
	v_mov_b32_e32 v4, 0
	s_and_saveexec_b64 s[0:1], vcc
	s_cbranch_execz .LBB19_8
; %bb.5:
	s_ashr_i32 s13, s12, 31
	s_add_u32 s18, s10, s8
	s_addc_u32 s19, s11, s9
	s_lshl_b64 s[12:13], s[12:13], 2
	s_add_u32 s12, s18, s12
	s_addc_u32 s13, s19, s13
	s_add_u32 s12, s2, s12
	v_lshlrev_b32_e32 v1, 2, v0
	s_addc_u32 s13, s3, s13
	s_mov_b32 s19, 0
	v_mov_b32_e32 v3, s13
	v_add_co_u32_e32 v2, vcc, s12, v1
	v_addc_co_u32_e32 v3, vcc, 0, v3, vcc
	s_lshl_b32 s18, s15, 2
	s_mov_b64 s[12:13], 0
	v_mov_b32_e32 v4, 0
	v_mov_b32_e32 v1, s19
	v_mov_b32_e32 v5, v0
.LBB19_6:                               ; =>This Inner Loop Header: Depth=1
	global_load_dword v6, v[2:3], off
	v_add_co_u32_e32 v2, vcc, s18, v2
	v_add_u32_e32 v5, s15, v5
	v_addc_co_u32_e32 v3, vcc, v3, v1, vcc
	v_cmp_le_i32_e32 vcc, s17, v5
	s_or_b64 s[12:13], vcc, s[12:13]
	s_waitcnt vmcnt(0)
	v_fmac_f32_e32 v4, v6, v6
	s_andn2_b64 exec, exec, s[12:13]
	s_cbranch_execnz .LBB19_6
; %bb.7:
	s_or_b64 exec, exec, s[12:13]
.LBB19_8:
	s_or_b64 exec, exec, s[0:1]
	v_cmp_gt_i32_e64 s[0:1], s7, v0
	s_cbranch_execz .LBB19_11
	s_branch .LBB19_16
.LBB19_9:
                                        ; implicit-def: $sgpr0_sgpr1
	s_branch .LBB19_2
.LBB19_10:
                                        ; implicit-def: $vgpr4
	v_cmp_gt_i32_e64 s[0:1], s7, v0
.LBB19_11:
	v_mov_b32_e32 v4, 0
	s_and_saveexec_b64 s[12:13], s[0:1]
	s_cbranch_execz .LBB19_15
; %bb.12:
	s_add_u32 s0, s10, s8
	s_addc_u32 s1, s11, s9
	s_add_u32 s0, s2, s0
	v_lshlrev_b32_e32 v1, 2, v0
	s_addc_u32 s1, s3, s1
	s_mov_b32 s8, 0
	v_mov_b32_e32 v3, s1
	v_add_co_u32_e32 v2, vcc, s0, v1
	v_addc_co_u32_e32 v3, vcc, 0, v3, vcc
	s_lshl_b32 s2, s15, 2
	s_mov_b64 s[0:1], 0
	v_mov_b32_e32 v4, 0
	v_mov_b32_e32 v1, s8
	;; [unrolled: 1-line block ×3, first 2 shown]
.LBB19_13:                              ; =>This Inner Loop Header: Depth=1
	global_load_dword v6, v[2:3], off
	v_add_co_u32_e32 v2, vcc, s2, v2
	v_add_u32_e32 v5, s15, v5
	v_addc_co_u32_e32 v3, vcc, v3, v1, vcc
	v_cmp_le_i32_e32 vcc, s7, v5
	s_or_b64 s[0:1], vcc, s[0:1]
	s_waitcnt vmcnt(0)
	v_fmac_f32_e32 v4, v6, v6
	s_andn2_b64 exec, exec, s[0:1]
	s_cbranch_execnz .LBB19_13
; %bb.14:
	s_or_b64 exec, exec, s[0:1]
.LBB19_15:
	s_or_b64 exec, exec, s[12:13]
.LBB19_16:
	v_mbcnt_lo_u32_b32 v1, -1, 0
	v_mbcnt_hi_u32_b32 v1, -1, v1
	v_and_b32_e32 v2, 63, v1
	v_cmp_ne_u32_e32 vcc, 63, v2
	v_addc_co_u32_e32 v3, vcc, 0, v1, vcc
	v_lshlrev_b32_e32 v3, 2, v3
	ds_bpermute_b32 v3, v3, v4
	v_and_b32_e32 v5, 0x3c0, v0
	v_sub_u32_e64 v5, s15, v5 clamp
	v_add_u32_e32 v6, 1, v1
	v_cmp_lt_u32_e32 vcc, v6, v5
	s_waitcnt lgkmcnt(0)
	v_add_f32_e32 v3, v4, v3
	v_cndmask_b32_e32 v3, v4, v3, vcc
	v_cmp_gt_u32_e32 vcc, 62, v2
	v_cndmask_b32_e64 v4, 0, 1, vcc
	v_lshlrev_b32_e32 v4, 1, v4
	v_add_lshl_u32 v4, v4, v1, 2
	ds_bpermute_b32 v4, v4, v3
	v_add_u32_e32 v6, 2, v1
	v_cmp_lt_u32_e32 vcc, v6, v5
	v_add_u32_e32 v6, 4, v1
	s_waitcnt lgkmcnt(0)
	v_add_f32_e32 v4, v3, v4
	v_cndmask_b32_e32 v3, v3, v4, vcc
	v_cmp_gt_u32_e32 vcc, 60, v2
	v_cndmask_b32_e64 v4, 0, 1, vcc
	v_lshlrev_b32_e32 v4, 2, v4
	v_add_lshl_u32 v4, v4, v1, 2
	ds_bpermute_b32 v4, v4, v3
	v_cmp_lt_u32_e32 vcc, v6, v5
	v_add_u32_e32 v6, 8, v1
	s_waitcnt lgkmcnt(0)
	v_add_f32_e32 v4, v3, v4
	v_cndmask_b32_e32 v3, v3, v4, vcc
	v_cmp_gt_u32_e32 vcc, 56, v2
	v_cndmask_b32_e64 v4, 0, 1, vcc
	v_lshlrev_b32_e32 v4, 3, v4
	v_add_lshl_u32 v4, v4, v1, 2
	ds_bpermute_b32 v4, v4, v3
	;; [unrolled: 10-line block ×3, first 2 shown]
	v_cmp_lt_u32_e32 vcc, v6, v5
	s_waitcnt lgkmcnt(0)
	v_add_f32_e32 v4, v3, v4
	v_cndmask_b32_e32 v3, v3, v4, vcc
	v_cmp_gt_u32_e32 vcc, 32, v2
	v_cndmask_b32_e64 v2, 0, 1, vcc
	v_lshlrev_b32_e32 v2, 5, v2
	v_add_lshl_u32 v2, v2, v1, 2
	ds_bpermute_b32 v2, v2, v3
	v_add_u32_e32 v4, 32, v1
	v_cmp_lt_u32_e32 vcc, v4, v5
	s_waitcnt lgkmcnt(0)
	v_add_f32_e32 v2, v3, v2
	v_cndmask_b32_e32 v2, v3, v2, vcc
	v_cmp_eq_u32_e32 vcc, 0, v1
	s_and_saveexec_b64 s[0:1], vcc
	s_cbranch_execz .LBB19_18
; %bb.17:
	v_lshrrev_b32_e32 v3, 4, v0
	v_and_b32_e32 v3, 60, v3
	ds_write_b32 v3, v2
.LBB19_18:
	s_or_b64 exec, exec, s[0:1]
	v_cmp_gt_u32_e32 vcc, 16, v0
	s_waitcnt lgkmcnt(0)
	s_barrier
	s_and_saveexec_b64 s[2:3], vcc
	s_cbranch_execz .LBB19_20
; %bb.19:
	v_lshlrev_b32_e32 v2, 2, v1
	ds_read_b32 v2, v2
	v_and_b32_e32 v3, 15, v1
	v_cmp_ne_u32_e32 vcc, 15, v3
	v_addc_co_u32_e32 v4, vcc, 0, v1, vcc
	v_lshlrev_b32_e32 v4, 2, v4
	s_waitcnt lgkmcnt(0)
	ds_bpermute_b32 v4, v4, v2
	s_add_i32 s0, s15, 63
	s_lshr_b32 s8, s0, 6
	v_add_u32_e32 v5, 1, v3
	v_cmp_gt_u32_e64 s[0:1], 14, v3
	v_cmp_gt_u32_e32 vcc, s8, v5
	v_cndmask_b32_e64 v5, 0, 1, s[0:1]
	s_waitcnt lgkmcnt(0)
	v_add_f32_e32 v4, v2, v4
	v_lshlrev_b32_e32 v5, 1, v5
	v_cndmask_b32_e32 v4, v2, v4, vcc
	v_add_lshl_u32 v5, v5, v1, 2
	ds_bpermute_b32 v5, v5, v4
	v_add_u32_e32 v6, 2, v3
	v_cmp_gt_u32_e64 s[0:1], s8, v6
	v_add_u32_e32 v6, 4, v3
	s_waitcnt lgkmcnt(0)
	v_add_f32_e32 v5, v4, v5
	v_cndmask_b32_e64 v4, v4, v5, s[0:1]
	v_cmp_gt_u32_e64 s[0:1], 12, v3
	v_cndmask_b32_e64 v5, 0, 1, s[0:1]
	v_lshlrev_b32_e32 v5, 2, v5
	v_add_lshl_u32 v5, v5, v1, 2
	ds_bpermute_b32 v5, v5, v4
	v_cmp_gt_u32_e64 s[0:1], s8, v6
	s_waitcnt lgkmcnt(0)
	v_add_f32_e32 v5, v4, v5
	v_cndmask_b32_e64 v4, v4, v5, s[0:1]
	v_cmp_gt_u32_e64 s[0:1], 8, v3
	v_cndmask_b32_e64 v5, 0, 1, s[0:1]
	v_lshlrev_b32_e32 v5, 3, v5
	v_add_lshl_u32 v1, v5, v1, 2
	ds_bpermute_b32 v1, v1, v4
	v_add_u32_e32 v3, 8, v3
	v_cmp_gt_u32_e64 s[0:1], s8, v3
	s_waitcnt lgkmcnt(0)
	v_add_f32_e32 v1, v4, v1
	v_cndmask_b32_e64 v1, v4, v1, s[0:1]
	v_cndmask_b32_e32 v2, v2, v1, vcc
.LBB19_20:
	s_or_b64 exec, exec, s[2:3]
	v_cmp_eq_u32_e32 vcc, 0, v0
	s_and_saveexec_b64 s[0:1], vcc
	s_cbranch_execz .LBB19_22
; %bb.21:
	v_cvt_f32_i32_e32 v1, s7
	s_load_dword s8, s[4:5], 0x40
	v_div_scale_f32 v3, s[2:3], v1, v1, v2
	v_rcp_f32_e32 v4, v3
	v_div_scale_f32 v5, vcc, v2, v1, v2
	s_mov_b32 s2, 0x800000
	v_fma_f32 v6, -v3, v4, 1.0
	v_fmac_f32_e32 v4, v6, v4
	v_mul_f32_e32 v6, v5, v4
	v_fma_f32 v7, -v3, v6, v5
	v_fmac_f32_e32 v6, v7, v4
	v_fma_f32 v3, -v3, v6, v5
	v_div_fmas_f32 v3, v3, v4, v6
	v_div_fixup_f32 v1, v3, v1, v2
	s_waitcnt lgkmcnt(0)
	v_add_f32_e32 v1, s8, v1
	v_mul_f32_e32 v2, 0x4b800000, v1
	v_cmp_gt_f32_e32 vcc, s2, v1
	v_cndmask_b32_e32 v1, v1, v2, vcc
	v_rsq_f32_e32 v1, v1
	v_mul_f32_e32 v2, 0x45800000, v1
	v_cndmask_b32_e32 v1, v1, v2, vcc
	v_mov_b32_e32 v2, 0
	ds_write_b32 v2, v1 offset:64
.LBB19_22:
	s_or_b64 exec, exec, s[0:1]
	v_cmp_gt_i32_e32 vcc, s7, v0
	s_waitcnt lgkmcnt(0)
	s_barrier
	s_and_saveexec_b64 s[0:1], vcc
	s_cbranch_execz .LBB19_25
; %bb.23:
	s_load_dwordx2 s[2:3], s[4:5], 0x0
	s_load_dwordx2 s[0:1], s[4:5], 0x38
	v_mov_b32_e32 v1, 0
	s_mul_i32 s4, s6, s7
	s_mov_b32 s5, 0
	ds_read_b32 v2, v1 offset:64
	s_lshl_b64 s[4:5], s[4:5], 2
	s_waitcnt lgkmcnt(0)
	s_add_u32 s4, s2, s4
	s_addc_u32 s5, s3, s5
	s_mov_b64 s[2:3], 0
	v_mov_b32_e32 v3, s16
	v_mov_b32_e32 v4, s1
	;; [unrolled: 1-line block ×3, first 2 shown]
.LBB19_24:                              ; =>This Inner Loop Header: Depth=1
	v_ashrrev_i32_e32 v1, 31, v0
	v_lshlrev_b64 v[6:7], 2, v[0:1]
	v_add_co_u32_e32 v8, vcc, s14, v6
	v_addc_co_u32_e32 v9, vcc, v3, v7, vcc
	global_load_dword v1, v[8:9], off
	v_add_co_u32_e32 v8, vcc, s0, v6
	v_addc_co_u32_e32 v9, vcc, v4, v7, vcc
	global_load_dword v8, v[8:9], off
	v_add_co_u32_e32 v6, vcc, s4, v6
	v_add_u32_e32 v0, s15, v0
	v_addc_co_u32_e32 v7, vcc, v5, v7, vcc
	v_cmp_le_i32_e32 vcc, s7, v0
	s_or_b64 s[2:3], vcc, s[2:3]
	s_waitcnt vmcnt(1)
	v_mul_f32_e32 v1, v1, v2
	s_waitcnt vmcnt(0)
	v_mul_f32_e32 v1, v8, v1
	global_store_dword v[6:7], v1, off
	s_andn2_b64 exec, exec, s[2:3]
	s_cbranch_execnz .LBB19_24
.LBB19_25:
	s_endpgm
	.section	.rodata,"a",@progbits
	.p2align	6, 0x0
	.amdhsa_kernel _ZN4vllm15rms_norm_kernelIfLi1ELi3EEEvPT_PKS1_lllllS4_fii
		.amdhsa_group_segment_fixed_size 68
		.amdhsa_private_segment_fixed_size 0
		.amdhsa_kernarg_size 336
		.amdhsa_user_sgpr_count 6
		.amdhsa_user_sgpr_private_segment_buffer 1
		.amdhsa_user_sgpr_dispatch_ptr 0
		.amdhsa_user_sgpr_queue_ptr 0
		.amdhsa_user_sgpr_kernarg_segment_ptr 1
		.amdhsa_user_sgpr_dispatch_id 0
		.amdhsa_user_sgpr_flat_scratch_init 0
		.amdhsa_user_sgpr_kernarg_preload_length 0
		.amdhsa_user_sgpr_kernarg_preload_offset 0
		.amdhsa_user_sgpr_private_segment_size 0
		.amdhsa_uses_dynamic_stack 0
		.amdhsa_system_sgpr_private_segment_wavefront_offset 0
		.amdhsa_system_sgpr_workgroup_id_x 1
		.amdhsa_system_sgpr_workgroup_id_y 0
		.amdhsa_system_sgpr_workgroup_id_z 0
		.amdhsa_system_sgpr_workgroup_info 0
		.amdhsa_system_vgpr_workitem_id 0
		.amdhsa_next_free_vgpr 10
		.amdhsa_next_free_sgpr 21
		.amdhsa_accum_offset 12
		.amdhsa_reserve_vcc 1
		.amdhsa_reserve_flat_scratch 0
		.amdhsa_float_round_mode_32 0
		.amdhsa_float_round_mode_16_64 0
		.amdhsa_float_denorm_mode_32 3
		.amdhsa_float_denorm_mode_16_64 3
		.amdhsa_dx10_clamp 1
		.amdhsa_ieee_mode 1
		.amdhsa_fp16_overflow 0
		.amdhsa_tg_split 0
		.amdhsa_exception_fp_ieee_invalid_op 0
		.amdhsa_exception_fp_denorm_src 0
		.amdhsa_exception_fp_ieee_div_zero 0
		.amdhsa_exception_fp_ieee_overflow 0
		.amdhsa_exception_fp_ieee_underflow 0
		.amdhsa_exception_fp_ieee_inexact 0
		.amdhsa_exception_int_div_zero 0
	.end_amdhsa_kernel
	.section	.text._ZN4vllm15rms_norm_kernelIfLi1ELi3EEEvPT_PKS1_lllllS4_fii,"axG",@progbits,_ZN4vllm15rms_norm_kernelIfLi1ELi3EEEvPT_PKS1_lllllS4_fii,comdat
.Lfunc_end19:
	.size	_ZN4vllm15rms_norm_kernelIfLi1ELi3EEEvPT_PKS1_lllllS4_fii, .Lfunc_end19-_ZN4vllm15rms_norm_kernelIfLi1ELi3EEEvPT_PKS1_lllllS4_fii
                                        ; -- End function
	.section	.AMDGPU.csdata,"",@progbits
; Kernel info:
; codeLenInByte = 2080
; NumSgprs: 25
; NumVgprs: 10
; NumAgprs: 0
; TotalNumVgprs: 10
; ScratchSize: 0
; MemoryBound: 0
; FloatMode: 240
; IeeeMode: 1
; LDSByteSize: 68 bytes/workgroup (compile time only)
; SGPRBlocks: 3
; VGPRBlocks: 1
; NumSGPRsForWavesPerEU: 25
; NumVGPRsForWavesPerEU: 10
; AccumOffset: 12
; Occupancy: 8
; WaveLimiterHint : 0
; COMPUTE_PGM_RSRC2:SCRATCH_EN: 0
; COMPUTE_PGM_RSRC2:USER_SGPR: 6
; COMPUTE_PGM_RSRC2:TRAP_HANDLER: 0
; COMPUTE_PGM_RSRC2:TGID_X_EN: 1
; COMPUTE_PGM_RSRC2:TGID_Y_EN: 0
; COMPUTE_PGM_RSRC2:TGID_Z_EN: 0
; COMPUTE_PGM_RSRC2:TIDIG_COMP_CNT: 0
; COMPUTE_PGM_RSRC3_GFX90A:ACCUM_OFFSET: 2
; COMPUTE_PGM_RSRC3_GFX90A:TG_SPLIT: 0
	.section	.text._ZN4vllm15rms_norm_kernelIN3c104HalfELi16ELi3EEEvPT_PKS3_lllllS6_fii,"axG",@progbits,_ZN4vllm15rms_norm_kernelIN3c104HalfELi16ELi3EEEvPT_PKS3_lllllS6_fii,comdat
	.protected	_ZN4vllm15rms_norm_kernelIN3c104HalfELi16ELi3EEEvPT_PKS3_lllllS6_fii ; -- Begin function _ZN4vllm15rms_norm_kernelIN3c104HalfELi16ELi3EEEvPT_PKS3_lllllS6_fii
	.globl	_ZN4vllm15rms_norm_kernelIN3c104HalfELi16ELi3EEEvPT_PKS3_lllllS6_fii
	.p2align	8
	.type	_ZN4vllm15rms_norm_kernelIN3c104HalfELi16ELi3EEEvPT_PKS3_lllllS6_fii,@function
_ZN4vllm15rms_norm_kernelIN3c104HalfELi16ELi3EEEvPT_PKS3_lllllS6_fii: ; @_ZN4vllm15rms_norm_kernelIN3c104HalfELi16ELi3EEEvPT_PKS3_lllllS6_fii
; %bb.0:
	s_load_dwordx2 s[8:9], s[4:5], 0x28
	s_load_dwordx2 s[2:3], s[4:5], 0x8
	s_mov_b32 s0, 0
	s_waitcnt lgkmcnt(0)
	s_mov_b32 s1, s9
	s_cmp_lg_u64 s[0:1], 0
	s_cbranch_scc0 .LBB20_33
; %bb.1:
	s_ashr_i32 s10, s9, 31
	s_add_u32 s0, s8, s10
	s_mov_b32 s11, s10
	s_addc_u32 s1, s9, s10
	s_xor_b64 s[14:15], s[0:1], s[10:11]
	v_cvt_f32_u32_e32 v1, s14
	v_cvt_f32_u32_e32 v2, s15
	s_sub_u32 s0, 0, s14
	s_subb_u32 s1, 0, s15
	v_madmk_f32 v1, v2, 0x4f800000, v1
	v_rcp_f32_e32 v1, v1
	v_mul_f32_e32 v1, 0x5f7ffffc, v1
	v_mul_f32_e32 v2, 0x2f800000, v1
	v_trunc_f32_e32 v2, v2
	v_madmk_f32 v1, v2, 0xcf800000, v1
	v_cvt_u32_f32_e32 v2, v2
	v_cvt_u32_f32_e32 v1, v1
	v_readfirstlane_b32 s7, v2
	v_readfirstlane_b32 s9, v1
	s_mul_i32 s16, s0, s7
	s_mul_hi_u32 s18, s0, s9
	s_mul_i32 s17, s1, s9
	s_add_i32 s16, s18, s16
	s_add_i32 s16, s16, s17
	s_mul_i32 s19, s0, s9
	s_mul_hi_u32 s17, s9, s16
	s_mul_i32 s18, s9, s16
	s_mul_hi_u32 s9, s9, s19
	s_add_u32 s9, s9, s18
	s_addc_u32 s17, 0, s17
	s_mul_hi_u32 s20, s7, s19
	s_mul_i32 s19, s7, s19
	s_add_u32 s9, s9, s19
	s_mul_hi_u32 s18, s7, s16
	s_addc_u32 s9, s17, s20
	s_addc_u32 s17, s18, 0
	s_mul_i32 s16, s7, s16
	s_add_u32 s9, s9, s16
	s_addc_u32 s16, 0, s17
	v_add_co_u32_e32 v1, vcc, s9, v1
	s_cmp_lg_u64 vcc, 0
	s_addc_u32 s7, s7, s16
	v_readfirstlane_b32 s16, v1
	s_mul_i32 s9, s0, s7
	s_mul_hi_u32 s17, s0, s16
	s_add_i32 s9, s17, s9
	s_mul_i32 s1, s1, s16
	s_add_i32 s9, s9, s1
	s_mul_i32 s0, s0, s16
	s_mul_hi_u32 s17, s7, s0
	s_mul_i32 s18, s7, s0
	s_mul_i32 s20, s16, s9
	s_mul_hi_u32 s0, s16, s0
	s_mul_hi_u32 s19, s16, s9
	s_add_u32 s0, s0, s20
	s_addc_u32 s16, 0, s19
	s_add_u32 s0, s0, s18
	s_mul_hi_u32 s1, s7, s9
	s_addc_u32 s0, s16, s17
	s_addc_u32 s1, s1, 0
	s_mul_i32 s9, s7, s9
	s_add_u32 s0, s0, s9
	s_addc_u32 s1, 0, s1
	v_add_co_u32_e32 v1, vcc, s0, v1
	s_cmp_lg_u64 vcc, 0
	s_addc_u32 s0, s7, s1
	v_readfirstlane_b32 s7, v1
	s_mul_hi_u32 s1, s6, s0
	s_mul_i32 s0, s6, s0
	s_mul_hi_u32 s7, s6, s7
	s_add_u32 s0, s7, s0
	s_addc_u32 s1, 0, s1
	s_add_u32 s0, s0, 0
	s_addc_u32 s0, s1, 0
	s_addc_u32 s1, 0, 0
	s_add_u32 s7, s0, 0
	s_addc_u32 s9, 0, s1
	s_mul_i32 s0, s14, s9
	s_mul_hi_u32 s1, s14, s7
	s_add_i32 s0, s1, s0
	s_mul_i32 s1, s15, s7
	s_add_i32 s16, s0, s1
	s_mul_i32 s1, s14, s7
	v_mov_b32_e32 v1, s1
	s_sub_i32 s0, 0, s16
	v_sub_co_u32_e32 v1, vcc, s6, v1
	s_cmp_lg_u64 vcc, 0
	s_subb_u32 s17, s0, s15
	v_subrev_co_u32_e64 v2, s[0:1], s14, v1
	s_cmp_lg_u64 s[0:1], 0
	s_subb_u32 s0, s17, 0
	s_cmp_ge_u32 s0, s15
	v_readfirstlane_b32 s17, v2
	s_cselect_b32 s1, -1, 0
	s_cmp_ge_u32 s17, s14
	s_cselect_b32 s17, -1, 0
	s_cmp_eq_u32 s0, s15
	s_cselect_b32 s0, s17, s1
	s_add_u32 s1, s7, 1
	s_addc_u32 s17, s9, 0
	s_add_u32 s18, s7, 2
	s_addc_u32 s19, s9, 0
	s_cmp_lg_u32 s0, 0
	s_cselect_b32 s0, s18, s1
	s_cselect_b32 s1, s19, s17
	s_cmp_lg_u64 vcc, 0
	s_subb_u32 s16, 0, s16
	s_cmp_ge_u32 s16, s15
	v_readfirstlane_b32 s18, v1
	s_cselect_b32 s17, -1, 0
	s_cmp_ge_u32 s18, s14
	s_cselect_b32 s14, -1, 0
	s_cmp_eq_u32 s16, s15
	s_cselect_b32 s14, s14, s17
	s_cmp_lg_u32 s14, 0
	s_cselect_b32 s1, s1, s9
	s_cselect_b32 s0, s0, s7
	s_xor_b64 s[0:1], s[0:1], s[10:11]
	s_sub_u32 s0, s0, s10
	s_subb_u32 s1, s1, s10
	s_cbranch_execnz .LBB20_3
.LBB20_2:
	v_cvt_f32_u32_e32 v1, s8
	s_sub_i32 s0, 0, s8
	s_mov_b32 s1, 0
	v_rcp_iflag_f32_e32 v1, v1
	v_mul_f32_e32 v1, 0x4f7ffffe, v1
	v_cvt_u32_f32_e32 v1, v1
	v_readfirstlane_b32 s7, v1
	s_mul_i32 s0, s0, s7
	s_mul_hi_u32 s0, s7, s0
	s_add_i32 s7, s7, s0
	s_mul_hi_u32 s0, s6, s7
	s_mul_i32 s9, s0, s8
	s_sub_i32 s9, s6, s9
	s_add_i32 s7, s0, 1
	s_sub_i32 s10, s9, s8
	s_cmp_ge_u32 s9, s8
	s_cselect_b32 s0, s7, s0
	s_cselect_b32 s9, s10, s9
	s_add_i32 s7, s0, 1
	s_cmp_ge_u32 s9, s8
	s_cselect_b32 s0, s7, s0
.LBB20_3:
	s_mul_i32 s7, s0, s8
	s_load_dwordx4 s[8:11], s[4:5], 0x10
	s_bfe_i64 s[12:13], s[0:1], 0x200000
	s_sub_i32 s7, s6, s7
	s_load_dword s18, s[4:5], 0x48
	s_load_dword s12, s[4:5], 0x5c
	s_waitcnt lgkmcnt(0)
	s_mul_i32 s1, s0, s11
	s_mul_hi_u32 s11, s0, s10
	s_add_i32 s1, s11, s1
	s_mul_i32 s11, s13, s10
	s_add_i32 s1, s1, s11
	s_mul_i32 s0, s0, s10
	s_lshl_b64 s[0:1], s[0:1], 1
	s_add_u32 s10, s2, s0
	s_addc_u32 s11, s3, s1
	s_ashr_i32 s13, s7, 31
	s_mul_i32 s9, s7, s9
	s_mul_hi_u32 s14, s7, s8
	s_add_i32 s9, s14, s9
	s_mul_i32 s13, s13, s8
	s_add_i32 s9, s9, s13
	s_mul_i32 s8, s7, s8
	s_lshl_b64 s[8:9], s[8:9], 1
	s_add_u32 s7, s10, s8
	s_addc_u32 s16, s11, s9
	s_and_b32 s17, s12, 0xffff
	s_and_b32 s10, s7, 31
	s_mov_b32 s11, 0
	s_cmp_lg_u64 s[10:11], 0
	s_cselect_b64 s[10:11], -1, 0
	s_and_b32 s12, s18, 15
	s_cmp_lg_u32 s12, 0
	s_cselect_b64 s[12:13], -1, 0
	s_or_b64 s[10:11], s[12:13], s[10:11]
	s_and_b64 vcc, exec, s[10:11]
	s_cbranch_vccz .LBB20_17
; %bb.4:
	s_sub_i32 s10, 0, s7
	s_bfe_u32 s10, s10, 0x40001
	s_min_i32 s10, s10, s18
	v_cmp_gt_i32_e32 vcc, s10, v0
	v_mov_b32_e32 v1, 0
	s_and_saveexec_b64 s[12:13], vcc
	s_cbranch_execz .LBB20_8
; %bb.5:
	s_add_u32 s11, s8, s0
	s_addc_u32 s14, s9, s1
	s_add_u32 s11, s2, s11
	v_lshlrev_b32_e32 v1, 1, v0
	s_addc_u32 s14, s3, s14
	s_mov_b32 s19, 0
	v_mov_b32_e32 v3, s14
	v_add_co_u32_e32 v2, vcc, s11, v1
	v_addc_co_u32_e32 v3, vcc, 0, v3, vcc
	s_lshl_b32 s11, s17, 1
	s_mov_b64 s[14:15], 0
	v_mov_b32_e32 v1, 0
	v_mov_b32_e32 v4, s19
	;; [unrolled: 1-line block ×3, first 2 shown]
.LBB20_6:                               ; =>This Inner Loop Header: Depth=1
	global_load_ushort v6, v[2:3], off
	v_add_co_u32_e32 v2, vcc, s11, v2
	v_add_u32_e32 v5, s17, v5
	v_addc_co_u32_e32 v3, vcc, v3, v4, vcc
	v_cmp_le_i32_e32 vcc, s10, v5
	s_or_b64 s[14:15], vcc, s[14:15]
	s_waitcnt vmcnt(0)
	v_fma_mix_f32 v1, v6, v6, v1 op_sel_hi:[1,1,0]
	s_andn2_b64 exec, exec, s[14:15]
	s_cbranch_execnz .LBB20_6
; %bb.7:
	s_or_b64 exec, exec, s[14:15]
.LBB20_8:
	s_or_b64 exec, exec, s[12:13]
	s_sub_i32 s19, s18, s10
	s_ashr_i32 s12, s19, 31
	s_lshr_b32 s12, s12, 28
	s_add_i32 s12, s19, s12
	s_ashr_i32 s20, s12, 4
	s_ashr_i32 s11, s10, 31
	v_cmp_gt_i32_e32 vcc, s20, v0
	s_and_saveexec_b64 s[12:13], vcc
	s_cbranch_execz .LBB20_12
; %bb.9:
	s_add_u32 s21, s8, s0
	s_addc_u32 s22, s9, s1
	s_lshl_b64 s[14:15], s[10:11], 1
	s_add_u32 s14, s2, s14
	s_addc_u32 s15, s3, s15
	s_add_u32 s14, s14, s21
	v_lshlrev_b32_e32 v2, 5, v0
	s_addc_u32 s15, s15, s22
	s_mov_b32 s23, 0
	v_mov_b32_e32 v3, s15
	v_add_co_u32_e32 v2, vcc, s14, v2
	v_addc_co_u32_e32 v3, vcc, 0, v3, vcc
	s_lshl_b32 s21, s17, 5
	s_mov_b64 s[14:15], 0
	v_mov_b32_e32 v4, s23
	v_mov_b32_e32 v5, v0
.LBB20_10:                              ; =>This Inner Loop Header: Depth=1
	global_load_dwordx4 v[6:9], v[2:3], off
	global_load_dwordx4 v[10:13], v[2:3], off offset:16
	v_add_co_u32_e32 v2, vcc, s21, v2
	v_add_u32_e32 v5, s17, v5
	v_addc_co_u32_e32 v3, vcc, v3, v4, vcc
	v_cmp_le_i32_e32 vcc, s20, v5
	s_or_b64 s[14:15], vcc, s[14:15]
	s_waitcnt vmcnt(1)
	v_fma_mix_f32 v1, v6, v6, v1 op_sel_hi:[1,1,0]
	v_fma_mix_f32 v1, v6, v6, v1 op_sel:[1,1,0] op_sel_hi:[1,1,0]
	v_fma_mix_f32 v1, v7, v7, v1 op_sel_hi:[1,1,0]
	v_fma_mix_f32 v1, v7, v7, v1 op_sel:[1,1,0] op_sel_hi:[1,1,0]
	;; [unrolled: 2-line block ×4, first 2 shown]
	s_waitcnt vmcnt(0)
	v_fma_mix_f32 v1, v10, v10, v1 op_sel_hi:[1,1,0]
	v_fma_mix_f32 v1, v10, v10, v1 op_sel:[1,1,0] op_sel_hi:[1,1,0]
	v_fma_mix_f32 v1, v11, v11, v1 op_sel_hi:[1,1,0]
	v_fma_mix_f32 v1, v11, v11, v1 op_sel:[1,1,0] op_sel_hi:[1,1,0]
	;; [unrolled: 2-line block ×4, first 2 shown]
	s_andn2_b64 exec, exec, s[14:15]
	s_cbranch_execnz .LBB20_10
; %bb.11:
	s_or_b64 exec, exec, s[14:15]
.LBB20_12:
	s_or_b64 exec, exec, s[12:13]
	v_lshl_add_u32 v2, s20, 4, v0
	v_cmp_gt_i32_e32 vcc, s19, v2
	s_and_saveexec_b64 s[12:13], vcc
	s_cbranch_execz .LBB20_16
; %bb.13:
	s_add_u32 s14, s8, s0
	s_addc_u32 s15, s9, s1
	s_lshl_b64 s[10:11], s[10:11], 1
	s_add_u32 s10, s14, s10
	s_addc_u32 s11, s15, s11
	v_ashrrev_i32_e32 v3, 31, v2
	s_add_u32 s10, s2, s10
	v_lshlrev_b64 v[4:5], 1, v[2:3]
	s_addc_u32 s11, s3, s11
	v_mov_b32_e32 v3, s11
	v_add_co_u32_e32 v4, vcc, s10, v4
	s_mov_b32 s15, 0
	v_addc_co_u32_e32 v5, vcc, v3, v5, vcc
	s_lshl_b32 s14, s17, 1
	s_mov_b64 s[10:11], 0
	v_mov_b32_e32 v3, s15
.LBB20_14:                              ; =>This Inner Loop Header: Depth=1
	global_load_ushort v6, v[4:5], off
	v_add_co_u32_e32 v4, vcc, s14, v4
	v_add_u32_e32 v2, s17, v2
	v_addc_co_u32_e32 v5, vcc, v5, v3, vcc
	v_cmp_le_i32_e32 vcc, s19, v2
	s_or_b64 s[10:11], vcc, s[10:11]
	s_waitcnt vmcnt(0)
	v_fma_mix_f32 v1, v6, v6, v1 op_sel_hi:[1,1,0]
	s_andn2_b64 exec, exec, s[10:11]
	s_cbranch_execnz .LBB20_14
; %bb.15:
	s_or_b64 exec, exec, s[10:11]
.LBB20_16:
	s_or_b64 exec, exec, s[12:13]
	s_branch .LBB20_23
.LBB20_17:
                                        ; implicit-def: $vgpr1
	s_cbranch_execz .LBB20_23
; %bb.18:
	s_ashr_i32 s12, s18, 4
	v_cmp_gt_i32_e32 vcc, s12, v0
	v_mov_b32_e32 v1, 0
	s_and_saveexec_b64 s[10:11], vcc
	s_cbranch_execz .LBB20_22
; %bb.19:
	s_add_u32 s0, s8, s0
	s_addc_u32 s1, s9, s1
	s_add_u32 s0, s2, s0
	v_lshlrev_b32_e32 v1, 5, v0
	s_addc_u32 s1, s3, s1
	s_mov_b32 s8, 0
	v_mov_b32_e32 v3, s1
	v_add_co_u32_e32 v2, vcc, s0, v1
	v_addc_co_u32_e32 v3, vcc, 0, v3, vcc
	s_lshl_b32 s2, s17, 5
	s_mov_b64 s[0:1], 0
	v_mov_b32_e32 v1, 0
	v_mov_b32_e32 v4, s8
	v_mov_b32_e32 v5, v0
.LBB20_20:                              ; =>This Inner Loop Header: Depth=1
	global_load_dwordx4 v[6:9], v[2:3], off
	global_load_dwordx4 v[10:13], v[2:3], off offset:16
	v_add_co_u32_e32 v2, vcc, s2, v2
	v_add_u32_e32 v5, s17, v5
	v_addc_co_u32_e32 v3, vcc, v3, v4, vcc
	v_cmp_le_i32_e32 vcc, s12, v5
	s_or_b64 s[0:1], vcc, s[0:1]
	s_waitcnt vmcnt(1)
	v_fma_mix_f32 v1, v6, v6, v1 op_sel_hi:[1,1,0]
	v_fma_mix_f32 v1, v6, v6, v1 op_sel:[1,1,0] op_sel_hi:[1,1,0]
	v_fma_mix_f32 v1, v7, v7, v1 op_sel_hi:[1,1,0]
	v_fma_mix_f32 v1, v7, v7, v1 op_sel:[1,1,0] op_sel_hi:[1,1,0]
	;; [unrolled: 2-line block ×4, first 2 shown]
	s_waitcnt vmcnt(0)
	v_fma_mix_f32 v1, v10, v10, v1 op_sel_hi:[1,1,0]
	v_fma_mix_f32 v1, v10, v10, v1 op_sel:[1,1,0] op_sel_hi:[1,1,0]
	v_fma_mix_f32 v1, v11, v11, v1 op_sel_hi:[1,1,0]
	v_fma_mix_f32 v1, v11, v11, v1 op_sel:[1,1,0] op_sel_hi:[1,1,0]
	;; [unrolled: 2-line block ×4, first 2 shown]
	s_andn2_b64 exec, exec, s[0:1]
	s_cbranch_execnz .LBB20_20
; %bb.21:
	s_or_b64 exec, exec, s[0:1]
.LBB20_22:
	s_or_b64 exec, exec, s[10:11]
.LBB20_23:
	v_mbcnt_lo_u32_b32 v2, -1, 0
	v_mbcnt_hi_u32_b32 v2, -1, v2
	v_and_b32_e32 v3, 63, v2
	v_cmp_ne_u32_e32 vcc, 63, v3
	v_addc_co_u32_e32 v4, vcc, 0, v2, vcc
	v_lshlrev_b32_e32 v4, 2, v4
	ds_bpermute_b32 v4, v4, v1
	v_and_b32_e32 v5, 0x3c0, v0
	v_sub_u32_e64 v5, s17, v5 clamp
	v_add_u32_e32 v6, 1, v2
	v_cmp_lt_u32_e32 vcc, v6, v5
	s_waitcnt lgkmcnt(0)
	v_add_f32_e32 v4, v1, v4
	v_cndmask_b32_e32 v1, v1, v4, vcc
	v_cmp_gt_u32_e32 vcc, 62, v3
	v_cndmask_b32_e64 v4, 0, 1, vcc
	v_lshlrev_b32_e32 v4, 1, v4
	v_add_lshl_u32 v4, v4, v2, 2
	ds_bpermute_b32 v4, v4, v1
	v_add_u32_e32 v6, 2, v2
	v_cmp_lt_u32_e32 vcc, v6, v5
	v_add_u32_e32 v6, 4, v2
	s_waitcnt lgkmcnt(0)
	v_add_f32_e32 v4, v1, v4
	v_cndmask_b32_e32 v1, v1, v4, vcc
	v_cmp_gt_u32_e32 vcc, 60, v3
	v_cndmask_b32_e64 v4, 0, 1, vcc
	v_lshlrev_b32_e32 v4, 2, v4
	v_add_lshl_u32 v4, v4, v2, 2
	ds_bpermute_b32 v4, v4, v1
	v_cmp_lt_u32_e32 vcc, v6, v5
	v_add_u32_e32 v6, 8, v2
	s_waitcnt lgkmcnt(0)
	v_add_f32_e32 v4, v1, v4
	v_cndmask_b32_e32 v1, v1, v4, vcc
	v_cmp_gt_u32_e32 vcc, 56, v3
	v_cndmask_b32_e64 v4, 0, 1, vcc
	v_lshlrev_b32_e32 v4, 3, v4
	v_add_lshl_u32 v4, v4, v2, 2
	ds_bpermute_b32 v4, v4, v1
	;; [unrolled: 10-line block ×3, first 2 shown]
	v_cmp_lt_u32_e32 vcc, v6, v5
	s_waitcnt lgkmcnt(0)
	v_add_f32_e32 v4, v1, v4
	v_cndmask_b32_e32 v1, v1, v4, vcc
	v_cmp_gt_u32_e32 vcc, 32, v3
	v_cndmask_b32_e64 v3, 0, 1, vcc
	v_lshlrev_b32_e32 v3, 5, v3
	v_add_lshl_u32 v3, v3, v2, 2
	ds_bpermute_b32 v3, v3, v1
	v_add_u32_e32 v4, 32, v2
	v_cmp_lt_u32_e32 vcc, v4, v5
	s_waitcnt lgkmcnt(0)
	v_add_f32_e32 v3, v1, v3
	v_cndmask_b32_e32 v1, v1, v3, vcc
	v_cmp_eq_u32_e32 vcc, 0, v2
	s_and_saveexec_b64 s[0:1], vcc
	s_cbranch_execz .LBB20_25
; %bb.24:
	v_lshrrev_b32_e32 v3, 4, v0
	v_and_b32_e32 v3, 60, v3
	ds_write_b32 v3, v1
.LBB20_25:
	s_or_b64 exec, exec, s[0:1]
	v_cmp_gt_u32_e32 vcc, 16, v0
	s_waitcnt lgkmcnt(0)
	s_barrier
	s_and_saveexec_b64 s[2:3], vcc
	s_cbranch_execz .LBB20_27
; %bb.26:
	v_lshlrev_b32_e32 v1, 2, v2
	ds_read_b32 v1, v1
	v_and_b32_e32 v3, 15, v2
	v_cmp_ne_u32_e32 vcc, 15, v3
	v_addc_co_u32_e32 v4, vcc, 0, v2, vcc
	v_lshlrev_b32_e32 v4, 2, v4
	s_waitcnt lgkmcnt(0)
	ds_bpermute_b32 v4, v4, v1
	s_add_i32 s0, s17, 63
	s_lshr_b32 s8, s0, 6
	v_add_u32_e32 v5, 1, v3
	v_cmp_gt_u32_e64 s[0:1], 14, v3
	v_cmp_gt_u32_e32 vcc, s8, v5
	v_cndmask_b32_e64 v5, 0, 1, s[0:1]
	s_waitcnt lgkmcnt(0)
	v_add_f32_e32 v4, v1, v4
	v_lshlrev_b32_e32 v5, 1, v5
	v_cndmask_b32_e32 v4, v1, v4, vcc
	v_add_lshl_u32 v5, v5, v2, 2
	ds_bpermute_b32 v5, v5, v4
	v_add_u32_e32 v6, 2, v3
	v_cmp_gt_u32_e64 s[0:1], s8, v6
	v_add_u32_e32 v6, 4, v3
	s_waitcnt lgkmcnt(0)
	v_add_f32_e32 v5, v4, v5
	v_cndmask_b32_e64 v4, v4, v5, s[0:1]
	v_cmp_gt_u32_e64 s[0:1], 12, v3
	v_cndmask_b32_e64 v5, 0, 1, s[0:1]
	v_lshlrev_b32_e32 v5, 2, v5
	v_add_lshl_u32 v5, v5, v2, 2
	ds_bpermute_b32 v5, v5, v4
	v_cmp_gt_u32_e64 s[0:1], s8, v6
	s_waitcnt lgkmcnt(0)
	v_add_f32_e32 v5, v4, v5
	v_cndmask_b32_e64 v4, v4, v5, s[0:1]
	v_cmp_gt_u32_e64 s[0:1], 8, v3
	v_cndmask_b32_e64 v5, 0, 1, s[0:1]
	v_lshlrev_b32_e32 v5, 3, v5
	v_add_lshl_u32 v2, v5, v2, 2
	ds_bpermute_b32 v2, v2, v4
	v_add_u32_e32 v3, 8, v3
	v_cmp_gt_u32_e64 s[0:1], s8, v3
	s_waitcnt lgkmcnt(0)
	v_add_f32_e32 v2, v4, v2
	v_cndmask_b32_e64 v2, v4, v2, s[0:1]
	v_cndmask_b32_e32 v1, v1, v2, vcc
.LBB20_27:
	s_or_b64 exec, exec, s[2:3]
	v_cmp_eq_u32_e32 vcc, 0, v0
	s_and_saveexec_b64 s[0:1], vcc
	s_cbranch_execz .LBB20_29
; %bb.28:
	v_cvt_f32_i32_e32 v2, s18
	s_load_dword s8, s[4:5], 0x40
	v_div_scale_f32 v3, s[2:3], v2, v2, v1
	v_rcp_f32_e32 v4, v3
	v_div_scale_f32 v5, vcc, v1, v2, v1
	s_mov_b32 s2, 0x800000
	v_fma_f32 v6, -v3, v4, 1.0
	v_fmac_f32_e32 v4, v6, v4
	v_mul_f32_e32 v6, v5, v4
	v_fma_f32 v7, -v3, v6, v5
	v_fmac_f32_e32 v6, v7, v4
	v_fma_f32 v3, -v3, v6, v5
	v_div_fmas_f32 v3, v3, v4, v6
	v_div_fixup_f32 v1, v3, v2, v1
	s_waitcnt lgkmcnt(0)
	v_add_f32_e32 v1, s8, v1
	v_mul_f32_e32 v2, 0x4b800000, v1
	v_cmp_gt_f32_e32 vcc, s2, v1
	v_cndmask_b32_e32 v1, v1, v2, vcc
	v_rsq_f32_e32 v1, v1
	v_mul_f32_e32 v2, 0x45800000, v1
	v_cndmask_b32_e32 v1, v1, v2, vcc
	v_mov_b32_e32 v2, 0
	ds_write_b32 v2, v1 offset:64
.LBB20_29:
	s_or_b64 exec, exec, s[0:1]
	s_ashr_i32 s0, s18, 31
	s_lshr_b32 s0, s0, 28
	s_add_i32 s0, s18, s0
	s_ashr_i32 s8, s0, 4
	v_cmp_gt_i32_e32 vcc, s8, v0
	s_waitcnt lgkmcnt(0)
	s_barrier
	s_and_saveexec_b64 s[0:1], vcc
	s_cbranch_execz .LBB20_32
; %bb.30:
	v_mov_b32_e32 v1, 0
	s_load_dwordx2 s[0:1], s[4:5], 0x0
	s_load_dwordx2 s[2:3], s[4:5], 0x38
	ds_read_b32 v2, v1 offset:64
	s_mul_i32 s4, s6, s18
	s_mov_b32 s5, 0
	s_lshl_b64 s[4:5], s[4:5], 1
	s_waitcnt lgkmcnt(0)
	s_add_u32 s6, s0, s4
	s_addc_u32 s9, s1, s5
	v_mov_b32_e32 v3, v2
	v_lshlrev_b32_e32 v4, 5, v0
	s_lshl_b32 s10, s17, 5
	s_mov_b64 s[4:5], 0
	v_mov_b32_e32 v6, v2
	v_mov_b32_e32 v7, v2
.LBB20_31:                              ; =>This Inner Loop Header: Depth=1
	v_mov_b32_e32 v1, s16
	v_add_co_u32_e64 v16, s[0:1], s7, v4
	v_addc_co_u32_e64 v17, s[0:1], 0, v1, s[0:1]
	global_load_dwordx4 v[8:11], v[16:17], off
	global_load_dwordx4 v[12:15], v[16:17], off offset:16
	v_mov_b32_e32 v5, s3
	v_add_co_u32_e32 v24, vcc, s2, v4
	v_addc_co_u32_e32 v25, vcc, 0, v5, vcc
	global_load_dwordx4 v[16:19], v[24:25], off
	global_load_dwordx4 v[20:23], v[24:25], off offset:16
	v_mov_b32_e32 v1, s9
	v_add_co_u32_e32 v24, vcc, s6, v4
	s_add_u32 s6, s6, s10
	v_addc_co_u32_e32 v25, vcc, 0, v1, vcc
	s_addc_u32 s9, s9, 0
	s_add_u32 s7, s7, s10
	s_addc_u32 s16, s16, 0
	v_add_u32_e32 v0, s17, v0
	s_add_u32 s2, s2, s10
	v_cmp_le_i32_e32 vcc, s8, v0
	s_addc_u32 s3, s3, 0
	s_or_b64 s[4:5], vcc, s[4:5]
	s_waitcnt vmcnt(3)
	v_cvt_f32_f16_e32 v26, v8
	v_cvt_f32_f16_sdwa v27, v8 dst_sel:DWORD dst_unused:UNUSED_PAD src0_sel:WORD_1
	v_cvt_f32_f16_e32 v8, v9
	v_cvt_f32_f16_sdwa v9, v9 dst_sel:DWORD dst_unused:UNUSED_PAD src0_sel:WORD_1
	;; [unrolled: 2-line block ×4, first 2 shown]
	s_waitcnt vmcnt(2)
	v_cvt_f32_f16_e32 v30, v12
	v_cvt_f32_f16_sdwa v31, v12 dst_sel:DWORD dst_unused:UNUSED_PAD src0_sel:WORD_1
	v_cvt_f32_f16_e32 v12, v13
	v_cvt_f32_f16_sdwa v13, v13 dst_sel:DWORD dst_unused:UNUSED_PAD src0_sel:WORD_1
	;; [unrolled: 2-line block ×4, first 2 shown]
	v_pk_mul_f32 v[8:9], v[6:7], v[8:9]
	v_pk_mul_f32 v[26:27], v[2:3], v[26:27]
	;; [unrolled: 1-line block ×8, first 2 shown]
	v_cvt_f16_f32_e32 v1, v27
	v_cvt_f16_f32_e32 v5, v26
	v_cvt_f16_f32_e32 v9, v9
	v_cvt_f16_f32_e32 v8, v8
	v_cvt_f16_f32_e32 v26, v29
	v_cvt_f16_f32_e32 v27, v28
	v_cvt_f16_f32_e32 v11, v11
	v_cvt_f16_f32_e32 v10, v10
	v_cvt_f16_f32_e32 v28, v31
	v_cvt_f16_f32_e32 v29, v30
	v_cvt_f16_f32_e32 v13, v13
	v_cvt_f16_f32_e32 v12, v12
	v_cvt_f16_f32_e32 v30, v33
	v_cvt_f16_f32_e32 v31, v32
	v_cvt_f16_f32_e32 v15, v15
	v_cvt_f16_f32_e32 v14, v14
	v_pack_b32_f16 v8, v8, v9
	v_pack_b32_f16 v1, v5, v1
	;; [unrolled: 1-line block ×8, first 2 shown]
	s_waitcnt vmcnt(1)
	v_pk_mul_f16 v9, v17, v8
	v_pk_mul_f16 v8, v16, v1
	;; [unrolled: 1-line block ×4, first 2 shown]
	s_waitcnt vmcnt(0)
	v_pk_mul_f16 v13, v21, v12
	v_pk_mul_f16 v12, v20, v26
	;; [unrolled: 1-line block ×4, first 2 shown]
	global_store_dwordx4 v[24:25], v[8:11], off
	global_store_dwordx4 v[24:25], v[12:15], off offset:16
	s_andn2_b64 exec, exec, s[4:5]
	s_cbranch_execnz .LBB20_31
.LBB20_32:
	s_endpgm
.LBB20_33:
                                        ; implicit-def: $sgpr0_sgpr1
	s_branch .LBB20_2
	.section	.rodata,"a",@progbits
	.p2align	6, 0x0
	.amdhsa_kernel _ZN4vllm15rms_norm_kernelIN3c104HalfELi16ELi3EEEvPT_PKS3_lllllS6_fii
		.amdhsa_group_segment_fixed_size 68
		.amdhsa_private_segment_fixed_size 0
		.amdhsa_kernarg_size 336
		.amdhsa_user_sgpr_count 6
		.amdhsa_user_sgpr_private_segment_buffer 1
		.amdhsa_user_sgpr_dispatch_ptr 0
		.amdhsa_user_sgpr_queue_ptr 0
		.amdhsa_user_sgpr_kernarg_segment_ptr 1
		.amdhsa_user_sgpr_dispatch_id 0
		.amdhsa_user_sgpr_flat_scratch_init 0
		.amdhsa_user_sgpr_kernarg_preload_length 0
		.amdhsa_user_sgpr_kernarg_preload_offset 0
		.amdhsa_user_sgpr_private_segment_size 0
		.amdhsa_uses_dynamic_stack 0
		.amdhsa_system_sgpr_private_segment_wavefront_offset 0
		.amdhsa_system_sgpr_workgroup_id_x 1
		.amdhsa_system_sgpr_workgroup_id_y 0
		.amdhsa_system_sgpr_workgroup_id_z 0
		.amdhsa_system_sgpr_workgroup_info 0
		.amdhsa_system_vgpr_workitem_id 0
		.amdhsa_next_free_vgpr 34
		.amdhsa_next_free_sgpr 24
		.amdhsa_accum_offset 36
		.amdhsa_reserve_vcc 1
		.amdhsa_reserve_flat_scratch 0
		.amdhsa_float_round_mode_32 0
		.amdhsa_float_round_mode_16_64 0
		.amdhsa_float_denorm_mode_32 3
		.amdhsa_float_denorm_mode_16_64 3
		.amdhsa_dx10_clamp 1
		.amdhsa_ieee_mode 1
		.amdhsa_fp16_overflow 0
		.amdhsa_tg_split 0
		.amdhsa_exception_fp_ieee_invalid_op 0
		.amdhsa_exception_fp_denorm_src 0
		.amdhsa_exception_fp_ieee_div_zero 0
		.amdhsa_exception_fp_ieee_overflow 0
		.amdhsa_exception_fp_ieee_underflow 0
		.amdhsa_exception_fp_ieee_inexact 0
		.amdhsa_exception_int_div_zero 0
	.end_amdhsa_kernel
	.section	.text._ZN4vllm15rms_norm_kernelIN3c104HalfELi16ELi3EEEvPT_PKS3_lllllS6_fii,"axG",@progbits,_ZN4vllm15rms_norm_kernelIN3c104HalfELi16ELi3EEEvPT_PKS3_lllllS6_fii,comdat
.Lfunc_end20:
	.size	_ZN4vllm15rms_norm_kernelIN3c104HalfELi16ELi3EEEvPT_PKS3_lllllS6_fii, .Lfunc_end20-_ZN4vllm15rms_norm_kernelIN3c104HalfELi16ELi3EEEvPT_PKS3_lllllS6_fii
                                        ; -- End function
	.section	.AMDGPU.csdata,"",@progbits
; Kernel info:
; codeLenInByte = 3092
; NumSgprs: 28
; NumVgprs: 34
; NumAgprs: 0
; TotalNumVgprs: 34
; ScratchSize: 0
; MemoryBound: 0
; FloatMode: 240
; IeeeMode: 1
; LDSByteSize: 68 bytes/workgroup (compile time only)
; SGPRBlocks: 3
; VGPRBlocks: 4
; NumSGPRsForWavesPerEU: 28
; NumVGPRsForWavesPerEU: 34
; AccumOffset: 36
; Occupancy: 8
; WaveLimiterHint : 0
; COMPUTE_PGM_RSRC2:SCRATCH_EN: 0
; COMPUTE_PGM_RSRC2:USER_SGPR: 6
; COMPUTE_PGM_RSRC2:TRAP_HANDLER: 0
; COMPUTE_PGM_RSRC2:TGID_X_EN: 1
; COMPUTE_PGM_RSRC2:TGID_Y_EN: 0
; COMPUTE_PGM_RSRC2:TGID_Z_EN: 0
; COMPUTE_PGM_RSRC2:TIDIG_COMP_CNT: 0
; COMPUTE_PGM_RSRC3_GFX90A:ACCUM_OFFSET: 8
; COMPUTE_PGM_RSRC3_GFX90A:TG_SPLIT: 0
	.section	.text._ZN4vllm15rms_norm_kernelIN3c104HalfELi8ELi3EEEvPT_PKS3_lllllS6_fii,"axG",@progbits,_ZN4vllm15rms_norm_kernelIN3c104HalfELi8ELi3EEEvPT_PKS3_lllllS6_fii,comdat
	.protected	_ZN4vllm15rms_norm_kernelIN3c104HalfELi8ELi3EEEvPT_PKS3_lllllS6_fii ; -- Begin function _ZN4vllm15rms_norm_kernelIN3c104HalfELi8ELi3EEEvPT_PKS3_lllllS6_fii
	.globl	_ZN4vllm15rms_norm_kernelIN3c104HalfELi8ELi3EEEvPT_PKS3_lllllS6_fii
	.p2align	8
	.type	_ZN4vllm15rms_norm_kernelIN3c104HalfELi8ELi3EEEvPT_PKS3_lllllS6_fii,@function
_ZN4vllm15rms_norm_kernelIN3c104HalfELi8ELi3EEEvPT_PKS3_lllllS6_fii: ; @_ZN4vllm15rms_norm_kernelIN3c104HalfELi8ELi3EEEvPT_PKS3_lllllS6_fii
; %bb.0:
	s_load_dwordx2 s[8:9], s[4:5], 0x28
	s_load_dwordx2 s[2:3], s[4:5], 0x8
	s_mov_b32 s0, 0
	s_waitcnt lgkmcnt(0)
	s_mov_b32 s1, s9
	s_cmp_lg_u64 s[0:1], 0
	s_cbranch_scc0 .LBB21_33
; %bb.1:
	s_ashr_i32 s10, s9, 31
	s_add_u32 s0, s8, s10
	s_mov_b32 s11, s10
	s_addc_u32 s1, s9, s10
	s_xor_b64 s[14:15], s[0:1], s[10:11]
	v_cvt_f32_u32_e32 v1, s14
	v_cvt_f32_u32_e32 v2, s15
	s_sub_u32 s0, 0, s14
	s_subb_u32 s1, 0, s15
	v_madmk_f32 v1, v2, 0x4f800000, v1
	v_rcp_f32_e32 v1, v1
	v_mul_f32_e32 v1, 0x5f7ffffc, v1
	v_mul_f32_e32 v2, 0x2f800000, v1
	v_trunc_f32_e32 v2, v2
	v_madmk_f32 v1, v2, 0xcf800000, v1
	v_cvt_u32_f32_e32 v2, v2
	v_cvt_u32_f32_e32 v1, v1
	v_readfirstlane_b32 s7, v2
	v_readfirstlane_b32 s9, v1
	s_mul_i32 s16, s0, s7
	s_mul_hi_u32 s18, s0, s9
	s_mul_i32 s17, s1, s9
	s_add_i32 s16, s18, s16
	s_add_i32 s16, s16, s17
	s_mul_i32 s19, s0, s9
	s_mul_hi_u32 s17, s9, s16
	s_mul_i32 s18, s9, s16
	s_mul_hi_u32 s9, s9, s19
	s_add_u32 s9, s9, s18
	s_addc_u32 s17, 0, s17
	s_mul_hi_u32 s20, s7, s19
	s_mul_i32 s19, s7, s19
	s_add_u32 s9, s9, s19
	s_mul_hi_u32 s18, s7, s16
	s_addc_u32 s9, s17, s20
	s_addc_u32 s17, s18, 0
	s_mul_i32 s16, s7, s16
	s_add_u32 s9, s9, s16
	s_addc_u32 s16, 0, s17
	v_add_co_u32_e32 v1, vcc, s9, v1
	s_cmp_lg_u64 vcc, 0
	s_addc_u32 s7, s7, s16
	v_readfirstlane_b32 s16, v1
	s_mul_i32 s9, s0, s7
	s_mul_hi_u32 s17, s0, s16
	s_add_i32 s9, s17, s9
	s_mul_i32 s1, s1, s16
	s_add_i32 s9, s9, s1
	s_mul_i32 s0, s0, s16
	s_mul_hi_u32 s17, s7, s0
	s_mul_i32 s18, s7, s0
	s_mul_i32 s20, s16, s9
	s_mul_hi_u32 s0, s16, s0
	s_mul_hi_u32 s19, s16, s9
	s_add_u32 s0, s0, s20
	s_addc_u32 s16, 0, s19
	s_add_u32 s0, s0, s18
	s_mul_hi_u32 s1, s7, s9
	s_addc_u32 s0, s16, s17
	s_addc_u32 s1, s1, 0
	s_mul_i32 s9, s7, s9
	s_add_u32 s0, s0, s9
	s_addc_u32 s1, 0, s1
	v_add_co_u32_e32 v1, vcc, s0, v1
	s_cmp_lg_u64 vcc, 0
	s_addc_u32 s0, s7, s1
	v_readfirstlane_b32 s7, v1
	s_mul_hi_u32 s1, s6, s0
	s_mul_i32 s0, s6, s0
	s_mul_hi_u32 s7, s6, s7
	s_add_u32 s0, s7, s0
	s_addc_u32 s1, 0, s1
	s_add_u32 s0, s0, 0
	s_addc_u32 s0, s1, 0
	s_addc_u32 s1, 0, 0
	s_add_u32 s7, s0, 0
	s_addc_u32 s9, 0, s1
	s_mul_i32 s0, s14, s9
	s_mul_hi_u32 s1, s14, s7
	s_add_i32 s0, s1, s0
	s_mul_i32 s1, s15, s7
	s_add_i32 s16, s0, s1
	s_mul_i32 s1, s14, s7
	v_mov_b32_e32 v1, s1
	s_sub_i32 s0, 0, s16
	v_sub_co_u32_e32 v1, vcc, s6, v1
	s_cmp_lg_u64 vcc, 0
	s_subb_u32 s17, s0, s15
	v_subrev_co_u32_e64 v2, s[0:1], s14, v1
	s_cmp_lg_u64 s[0:1], 0
	s_subb_u32 s0, s17, 0
	s_cmp_ge_u32 s0, s15
	v_readfirstlane_b32 s17, v2
	s_cselect_b32 s1, -1, 0
	s_cmp_ge_u32 s17, s14
	s_cselect_b32 s17, -1, 0
	s_cmp_eq_u32 s0, s15
	s_cselect_b32 s0, s17, s1
	s_add_u32 s1, s7, 1
	s_addc_u32 s17, s9, 0
	s_add_u32 s18, s7, 2
	s_addc_u32 s19, s9, 0
	s_cmp_lg_u32 s0, 0
	s_cselect_b32 s0, s18, s1
	s_cselect_b32 s1, s19, s17
	s_cmp_lg_u64 vcc, 0
	s_subb_u32 s16, 0, s16
	s_cmp_ge_u32 s16, s15
	v_readfirstlane_b32 s18, v1
	s_cselect_b32 s17, -1, 0
	s_cmp_ge_u32 s18, s14
	s_cselect_b32 s14, -1, 0
	s_cmp_eq_u32 s16, s15
	s_cselect_b32 s14, s14, s17
	s_cmp_lg_u32 s14, 0
	s_cselect_b32 s1, s1, s9
	s_cselect_b32 s0, s0, s7
	s_xor_b64 s[0:1], s[0:1], s[10:11]
	s_sub_u32 s0, s0, s10
	s_subb_u32 s1, s1, s10
	s_cbranch_execnz .LBB21_3
.LBB21_2:
	v_cvt_f32_u32_e32 v1, s8
	s_sub_i32 s0, 0, s8
	s_mov_b32 s1, 0
	v_rcp_iflag_f32_e32 v1, v1
	v_mul_f32_e32 v1, 0x4f7ffffe, v1
	v_cvt_u32_f32_e32 v1, v1
	v_readfirstlane_b32 s7, v1
	s_mul_i32 s0, s0, s7
	s_mul_hi_u32 s0, s7, s0
	s_add_i32 s7, s7, s0
	s_mul_hi_u32 s0, s6, s7
	s_mul_i32 s9, s0, s8
	s_sub_i32 s9, s6, s9
	s_add_i32 s7, s0, 1
	s_sub_i32 s10, s9, s8
	s_cmp_ge_u32 s9, s8
	s_cselect_b32 s0, s7, s0
	s_cselect_b32 s9, s10, s9
	s_add_i32 s7, s0, 1
	s_cmp_ge_u32 s9, s8
	s_cselect_b32 s0, s7, s0
.LBB21_3:
	s_load_dwordx4 s[12:15], s[4:5], 0x10
	s_mul_i32 s7, s0, s8
	s_bfe_i64 s[8:9], s[0:1], 0x200000
	s_sub_i32 s7, s6, s7
	s_load_dword s16, s[4:5], 0x48
	s_load_dword s17, s[4:5], 0x5c
	s_waitcnt lgkmcnt(0)
	s_mul_i32 s1, s0, s15
	s_mul_hi_u32 s8, s0, s14
	s_add_i32 s1, s8, s1
	s_mul_i32 s8, s9, s14
	s_add_i32 s1, s1, s8
	s_mul_i32 s0, s0, s14
	s_lshl_b64 s[8:9], s[0:1], 1
	s_ashr_i32 s0, s7, 31
	s_mul_i32 s1, s7, s13
	s_mul_hi_u32 s10, s7, s12
	s_add_i32 s1, s10, s1
	s_mul_i32 s0, s0, s12
	s_add_i32 s1, s1, s0
	s_mul_i32 s0, s7, s12
	s_add_u32 s14, s2, s8
	s_lshl_b64 s[10:11], s[0:1], 1
	s_add_u32 s0, s14, s10
	s_and_b32 s7, s17, 0xffff
	s_and_b32 s12, s0, 15
	s_mov_b32 s13, 0
	s_cmp_lg_u64 s[12:13], 0
	s_cselect_b64 s[12:13], -1, 0
	s_and_b32 s1, s16, 7
	s_cmp_lg_u32 s1, 0
	s_cselect_b64 s[14:15], -1, 0
	s_or_b64 s[12:13], s[14:15], s[12:13]
	s_and_b64 vcc, exec, s[12:13]
	s_cbranch_vccz .LBB21_17
; %bb.4:
	s_sub_i32 s0, 0, s0
	s_bfe_u32 s0, s0, 0x30001
	s_min_i32 s0, s0, s16
	v_cmp_gt_i32_e32 vcc, s0, v0
	v_mov_b32_e32 v1, 0
	s_and_saveexec_b64 s[12:13], vcc
	s_cbranch_execz .LBB21_8
; %bb.5:
	s_add_u32 s1, s10, s8
	s_addc_u32 s14, s11, s9
	s_add_u32 s1, s2, s1
	v_lshlrev_b32_e32 v1, 1, v0
	s_addc_u32 s14, s3, s14
	s_mov_b32 s17, 0
	v_mov_b32_e32 v3, s14
	v_add_co_u32_e32 v2, vcc, s1, v1
	v_addc_co_u32_e32 v3, vcc, 0, v3, vcc
	s_lshl_b32 s1, s7, 1
	s_mov_b64 s[14:15], 0
	v_mov_b32_e32 v1, 0
	v_mov_b32_e32 v4, s17
	;; [unrolled: 1-line block ×3, first 2 shown]
.LBB21_6:                               ; =>This Inner Loop Header: Depth=1
	global_load_ushort v6, v[2:3], off
	v_add_co_u32_e32 v2, vcc, s1, v2
	v_add_u32_e32 v5, s7, v5
	v_addc_co_u32_e32 v3, vcc, v3, v4, vcc
	v_cmp_le_i32_e32 vcc, s0, v5
	s_or_b64 s[14:15], vcc, s[14:15]
	s_waitcnt vmcnt(0)
	v_fma_mix_f32 v1, v6, v6, v1 op_sel_hi:[1,1,0]
	s_andn2_b64 exec, exec, s[14:15]
	s_cbranch_execnz .LBB21_6
; %bb.7:
	s_or_b64 exec, exec, s[14:15]
.LBB21_8:
	s_or_b64 exec, exec, s[12:13]
	s_sub_i32 s17, s16, s0
	s_ashr_i32 s12, s17, 31
	s_lshr_b32 s12, s12, 29
	s_add_i32 s12, s17, s12
	s_ashr_i32 s18, s12, 3
	s_ashr_i32 s1, s0, 31
	v_cmp_gt_i32_e32 vcc, s18, v0
	s_and_saveexec_b64 s[12:13], vcc
	s_cbranch_execz .LBB21_12
; %bb.9:
	s_add_u32 s19, s10, s8
	s_addc_u32 s20, s11, s9
	s_lshl_b64 s[14:15], s[0:1], 1
	s_add_u32 s14, s2, s14
	s_addc_u32 s15, s3, s15
	s_add_u32 s14, s14, s19
	v_lshlrev_b32_e32 v2, 4, v0
	s_addc_u32 s15, s15, s20
	s_mov_b32 s21, 0
	v_mov_b32_e32 v3, s15
	v_add_co_u32_e32 v2, vcc, s14, v2
	v_addc_co_u32_e32 v3, vcc, 0, v3, vcc
	s_lshl_b32 s19, s7, 4
	s_mov_b64 s[14:15], 0
	v_mov_b32_e32 v4, s21
	v_mov_b32_e32 v5, v0
.LBB21_10:                              ; =>This Inner Loop Header: Depth=1
	global_load_dwordx4 v[6:9], v[2:3], off
	v_add_co_u32_e32 v2, vcc, s19, v2
	v_add_u32_e32 v5, s7, v5
	v_addc_co_u32_e32 v3, vcc, v3, v4, vcc
	v_cmp_le_i32_e32 vcc, s18, v5
	s_or_b64 s[14:15], vcc, s[14:15]
	s_waitcnt vmcnt(0)
	v_fma_mix_f32 v1, v6, v6, v1 op_sel_hi:[1,1,0]
	v_fma_mix_f32 v1, v6, v6, v1 op_sel:[1,1,0] op_sel_hi:[1,1,0]
	v_fma_mix_f32 v1, v7, v7, v1 op_sel_hi:[1,1,0]
	v_fma_mix_f32 v1, v7, v7, v1 op_sel:[1,1,0] op_sel_hi:[1,1,0]
	;; [unrolled: 2-line block ×4, first 2 shown]
	s_andn2_b64 exec, exec, s[14:15]
	s_cbranch_execnz .LBB21_10
; %bb.11:
	s_or_b64 exec, exec, s[14:15]
.LBB21_12:
	s_or_b64 exec, exec, s[12:13]
	v_lshl_add_u32 v2, s18, 3, v0
	v_cmp_gt_i32_e32 vcc, s17, v2
	s_and_saveexec_b64 s[12:13], vcc
	s_cbranch_execz .LBB21_16
; %bb.13:
	s_add_u32 s14, s10, s8
	s_addc_u32 s15, s11, s9
	s_lshl_b64 s[0:1], s[0:1], 1
	s_add_u32 s0, s14, s0
	s_addc_u32 s1, s15, s1
	v_ashrrev_i32_e32 v3, 31, v2
	s_add_u32 s0, s2, s0
	v_lshlrev_b64 v[4:5], 1, v[2:3]
	s_addc_u32 s1, s3, s1
	v_mov_b32_e32 v3, s1
	v_add_co_u32_e32 v4, vcc, s0, v4
	s_mov_b32 s15, 0
	v_addc_co_u32_e32 v5, vcc, v3, v5, vcc
	s_lshl_b32 s14, s7, 1
	s_mov_b64 s[0:1], 0
	v_mov_b32_e32 v3, s15
.LBB21_14:                              ; =>This Inner Loop Header: Depth=1
	global_load_ushort v6, v[4:5], off
	v_add_co_u32_e32 v4, vcc, s14, v4
	v_add_u32_e32 v2, s7, v2
	v_addc_co_u32_e32 v5, vcc, v5, v3, vcc
	v_cmp_le_i32_e32 vcc, s17, v2
	s_or_b64 s[0:1], vcc, s[0:1]
	s_waitcnt vmcnt(0)
	v_fma_mix_f32 v1, v6, v6, v1 op_sel_hi:[1,1,0]
	s_andn2_b64 exec, exec, s[0:1]
	s_cbranch_execnz .LBB21_14
; %bb.15:
	s_or_b64 exec, exec, s[0:1]
.LBB21_16:
	s_or_b64 exec, exec, s[12:13]
	s_branch .LBB21_23
.LBB21_17:
                                        ; implicit-def: $vgpr1
	s_cbranch_execz .LBB21_23
; %bb.18:
	s_ashr_i32 s14, s16, 3
	v_cmp_gt_i32_e32 vcc, s14, v0
	v_mov_b32_e32 v1, 0
	s_and_saveexec_b64 s[0:1], vcc
	s_cbranch_execz .LBB21_22
; %bb.19:
	s_add_u32 s12, s10, s8
	s_addc_u32 s13, s11, s9
	s_add_u32 s12, s2, s12
	v_lshlrev_b32_e32 v1, 4, v0
	s_addc_u32 s13, s3, s13
	s_mov_b32 s17, 0
	v_mov_b32_e32 v3, s13
	v_add_co_u32_e32 v2, vcc, s12, v1
	v_addc_co_u32_e32 v3, vcc, 0, v3, vcc
	s_lshl_b32 s15, s7, 4
	s_mov_b64 s[12:13], 0
	v_mov_b32_e32 v1, 0
	v_mov_b32_e32 v4, s17
	;; [unrolled: 1-line block ×3, first 2 shown]
.LBB21_20:                              ; =>This Inner Loop Header: Depth=1
	global_load_dwordx4 v[6:9], v[2:3], off
	v_add_co_u32_e32 v2, vcc, s15, v2
	v_add_u32_e32 v5, s7, v5
	v_addc_co_u32_e32 v3, vcc, v3, v4, vcc
	v_cmp_le_i32_e32 vcc, s14, v5
	s_or_b64 s[12:13], vcc, s[12:13]
	s_waitcnt vmcnt(0)
	v_fma_mix_f32 v1, v6, v6, v1 op_sel_hi:[1,1,0]
	v_fma_mix_f32 v1, v6, v6, v1 op_sel:[1,1,0] op_sel_hi:[1,1,0]
	v_fma_mix_f32 v1, v7, v7, v1 op_sel_hi:[1,1,0]
	v_fma_mix_f32 v1, v7, v7, v1 op_sel:[1,1,0] op_sel_hi:[1,1,0]
	;; [unrolled: 2-line block ×4, first 2 shown]
	s_andn2_b64 exec, exec, s[12:13]
	s_cbranch_execnz .LBB21_20
; %bb.21:
	s_or_b64 exec, exec, s[12:13]
.LBB21_22:
	s_or_b64 exec, exec, s[0:1]
.LBB21_23:
	v_mbcnt_lo_u32_b32 v2, -1, 0
	v_mbcnt_hi_u32_b32 v2, -1, v2
	v_and_b32_e32 v3, 63, v2
	v_cmp_ne_u32_e32 vcc, 63, v3
	v_addc_co_u32_e32 v4, vcc, 0, v2, vcc
	v_lshlrev_b32_e32 v4, 2, v4
	ds_bpermute_b32 v4, v4, v1
	v_and_b32_e32 v5, 0x3c0, v0
	v_sub_u32_e64 v5, s7, v5 clamp
	v_add_u32_e32 v6, 1, v2
	v_cmp_lt_u32_e32 vcc, v6, v5
	s_waitcnt lgkmcnt(0)
	v_add_f32_e32 v4, v1, v4
	v_cndmask_b32_e32 v1, v1, v4, vcc
	v_cmp_gt_u32_e32 vcc, 62, v3
	v_cndmask_b32_e64 v4, 0, 1, vcc
	v_lshlrev_b32_e32 v4, 1, v4
	v_add_lshl_u32 v4, v4, v2, 2
	ds_bpermute_b32 v4, v4, v1
	v_add_u32_e32 v6, 2, v2
	v_cmp_lt_u32_e32 vcc, v6, v5
	v_add_u32_e32 v6, 4, v2
	s_waitcnt lgkmcnt(0)
	v_add_f32_e32 v4, v1, v4
	v_cndmask_b32_e32 v1, v1, v4, vcc
	v_cmp_gt_u32_e32 vcc, 60, v3
	v_cndmask_b32_e64 v4, 0, 1, vcc
	v_lshlrev_b32_e32 v4, 2, v4
	v_add_lshl_u32 v4, v4, v2, 2
	ds_bpermute_b32 v4, v4, v1
	v_cmp_lt_u32_e32 vcc, v6, v5
	v_add_u32_e32 v6, 8, v2
	s_waitcnt lgkmcnt(0)
	v_add_f32_e32 v4, v1, v4
	v_cndmask_b32_e32 v1, v1, v4, vcc
	v_cmp_gt_u32_e32 vcc, 56, v3
	v_cndmask_b32_e64 v4, 0, 1, vcc
	v_lshlrev_b32_e32 v4, 3, v4
	v_add_lshl_u32 v4, v4, v2, 2
	ds_bpermute_b32 v4, v4, v1
	;; [unrolled: 10-line block ×3, first 2 shown]
	v_cmp_lt_u32_e32 vcc, v6, v5
	s_waitcnt lgkmcnt(0)
	v_add_f32_e32 v4, v1, v4
	v_cndmask_b32_e32 v1, v1, v4, vcc
	v_cmp_gt_u32_e32 vcc, 32, v3
	v_cndmask_b32_e64 v3, 0, 1, vcc
	v_lshlrev_b32_e32 v3, 5, v3
	v_add_lshl_u32 v3, v3, v2, 2
	ds_bpermute_b32 v3, v3, v1
	v_add_u32_e32 v4, 32, v2
	v_cmp_lt_u32_e32 vcc, v4, v5
	s_waitcnt lgkmcnt(0)
	v_add_f32_e32 v3, v1, v3
	v_cndmask_b32_e32 v1, v1, v3, vcc
	v_cmp_eq_u32_e32 vcc, 0, v2
	s_and_saveexec_b64 s[0:1], vcc
	s_cbranch_execz .LBB21_25
; %bb.24:
	v_lshrrev_b32_e32 v3, 4, v0
	v_and_b32_e32 v3, 60, v3
	ds_write_b32 v3, v1
.LBB21_25:
	s_or_b64 exec, exec, s[0:1]
	v_cmp_gt_u32_e32 vcc, 16, v0
	s_waitcnt lgkmcnt(0)
	s_barrier
	s_and_saveexec_b64 s[12:13], vcc
	s_cbranch_execz .LBB21_27
; %bb.26:
	v_lshlrev_b32_e32 v1, 2, v2
	ds_read_b32 v1, v1
	v_and_b32_e32 v3, 15, v2
	v_cmp_ne_u32_e32 vcc, 15, v3
	v_addc_co_u32_e32 v4, vcc, 0, v2, vcc
	v_lshlrev_b32_e32 v4, 2, v4
	s_waitcnt lgkmcnt(0)
	ds_bpermute_b32 v4, v4, v1
	s_add_i32 s0, s7, 63
	s_lshr_b32 s14, s0, 6
	v_add_u32_e32 v5, 1, v3
	v_cmp_gt_u32_e64 s[0:1], 14, v3
	v_cmp_gt_u32_e32 vcc, s14, v5
	v_cndmask_b32_e64 v5, 0, 1, s[0:1]
	s_waitcnt lgkmcnt(0)
	v_add_f32_e32 v4, v1, v4
	v_lshlrev_b32_e32 v5, 1, v5
	v_cndmask_b32_e32 v4, v1, v4, vcc
	v_add_lshl_u32 v5, v5, v2, 2
	ds_bpermute_b32 v5, v5, v4
	v_add_u32_e32 v6, 2, v3
	v_cmp_gt_u32_e64 s[0:1], s14, v6
	v_add_u32_e32 v6, 4, v3
	s_waitcnt lgkmcnt(0)
	v_add_f32_e32 v5, v4, v5
	v_cndmask_b32_e64 v4, v4, v5, s[0:1]
	v_cmp_gt_u32_e64 s[0:1], 12, v3
	v_cndmask_b32_e64 v5, 0, 1, s[0:1]
	v_lshlrev_b32_e32 v5, 2, v5
	v_add_lshl_u32 v5, v5, v2, 2
	ds_bpermute_b32 v5, v5, v4
	v_cmp_gt_u32_e64 s[0:1], s14, v6
	s_waitcnt lgkmcnt(0)
	v_add_f32_e32 v5, v4, v5
	v_cndmask_b32_e64 v4, v4, v5, s[0:1]
	v_cmp_gt_u32_e64 s[0:1], 8, v3
	v_cndmask_b32_e64 v5, 0, 1, s[0:1]
	v_lshlrev_b32_e32 v5, 3, v5
	v_add_lshl_u32 v2, v5, v2, 2
	ds_bpermute_b32 v2, v2, v4
	v_add_u32_e32 v3, 8, v3
	v_cmp_gt_u32_e64 s[0:1], s14, v3
	s_waitcnt lgkmcnt(0)
	v_add_f32_e32 v2, v4, v2
	v_cndmask_b32_e64 v2, v4, v2, s[0:1]
	v_cndmask_b32_e32 v1, v1, v2, vcc
.LBB21_27:
	s_or_b64 exec, exec, s[12:13]
	v_cmp_eq_u32_e32 vcc, 0, v0
	s_and_saveexec_b64 s[0:1], vcc
	s_cbranch_execz .LBB21_29
; %bb.28:
	v_cvt_f32_i32_e32 v2, s16
	s_load_dword s14, s[4:5], 0x40
	v_div_scale_f32 v3, s[12:13], v2, v2, v1
	v_rcp_f32_e32 v4, v3
	v_div_scale_f32 v5, vcc, v1, v2, v1
	s_mov_b32 s12, 0x800000
	v_fma_f32 v6, -v3, v4, 1.0
	v_fmac_f32_e32 v4, v6, v4
	v_mul_f32_e32 v6, v5, v4
	v_fma_f32 v7, -v3, v6, v5
	v_fmac_f32_e32 v6, v7, v4
	v_fma_f32 v3, -v3, v6, v5
	v_div_fmas_f32 v3, v3, v4, v6
	v_div_fixup_f32 v1, v3, v2, v1
	s_waitcnt lgkmcnt(0)
	v_add_f32_e32 v1, s14, v1
	v_mul_f32_e32 v2, 0x4b800000, v1
	v_cmp_gt_f32_e32 vcc, s12, v1
	v_cndmask_b32_e32 v1, v1, v2, vcc
	v_rsq_f32_e32 v1, v1
	v_mul_f32_e32 v2, 0x45800000, v1
	v_cndmask_b32_e32 v1, v1, v2, vcc
	v_mov_b32_e32 v2, 0
	ds_write_b32 v2, v1 offset:64
.LBB21_29:
	s_or_b64 exec, exec, s[0:1]
	s_ashr_i32 s0, s16, 31
	s_lshr_b32 s0, s0, 29
	s_add_i32 s0, s16, s0
	s_ashr_i32 s12, s0, 3
	v_cmp_gt_i32_e32 vcc, s12, v0
	s_waitcnt lgkmcnt(0)
	s_barrier
	s_and_saveexec_b64 s[0:1], vcc
	s_cbranch_execz .LBB21_32
; %bb.30:
	v_mov_b32_e32 v1, 0
	ds_read_b32 v2, v1 offset:64
	s_load_dwordx2 s[0:1], s[4:5], 0x0
	s_load_dwordx2 s[14:15], s[4:5], 0x38
	s_mul_i32 s4, s6, s16
	s_mov_b32 s5, 0
	s_lshl_b64 s[4:5], s[4:5], 1
	s_waitcnt lgkmcnt(0)
	s_add_u32 s0, s0, s4
	v_lshlrev_b32_e32 v4, 4, v0
	s_addc_u32 s1, s1, s5
	s_lshl_b32 s4, s7, 4
	v_add_co_u32_e32 v1, vcc, s0, v4
	s_add_u32 s0, s10, s8
	v_mov_b32_e32 v5, s1
	s_addc_u32 s1, s11, s9
	s_add_u32 s0, s2, s0
	v_addc_co_u32_e32 v6, vcc, 0, v5, vcc
	s_addc_u32 s1, s3, s1
	v_mov_b32_e32 v5, s1
	v_add_co_u32_e32 v7, vcc, s0, v4
	v_addc_co_u32_e32 v5, vcc, 0, v5, vcc
	v_add_co_u32_e32 v7, vcc, 8, v7
	v_addc_co_u32_e32 v8, vcc, 0, v5, vcc
	v_mov_b32_e32 v5, s15
	v_add_co_u32_e32 v4, vcc, s14, v4
	v_addc_co_u32_e32 v5, vcc, 0, v5, vcc
	v_add_co_u32_e32 v9, vcc, 8, v4
	v_mov_b32_e32 v3, v2
	v_addc_co_u32_e32 v10, vcc, 0, v5, vcc
	s_mov_b64 s[0:1], 0
	v_mov_b32_e32 v4, v2
	v_mov_b32_e32 v5, v2
	s_mov_b64 s[2:3], 0
.LBB21_31:                              ; =>This Inner Loop Header: Depth=1
	v_mov_b32_e32 v11, s3
	v_add_co_u32_e32 v12, vcc, s2, v7
	v_addc_co_u32_e32 v13, vcc, v8, v11, vcc
	global_load_dwordx4 v[12:15], v[12:13], off offset:-8
	v_add_co_u32_e32 v16, vcc, s2, v9
	v_addc_co_u32_e32 v17, vcc, v10, v11, vcc
	global_load_dwordx4 v[16:19], v[16:17], off offset:-8
	v_add_co_u32_e32 v20, vcc, s2, v1
	v_addc_co_u32_e32 v21, vcc, v6, v11, vcc
	v_add_u32_e32 v0, s7, v0
	s_add_u32 s2, s2, s4
	s_addc_u32 s3, s3, 0
	v_cmp_le_i32_e32 vcc, s12, v0
	s_or_b64 s[0:1], vcc, s[0:1]
	s_waitcnt vmcnt(1)
	v_cvt_f32_f16_e32 v22, v12
	v_cvt_f32_f16_sdwa v23, v12 dst_sel:DWORD dst_unused:UNUSED_PAD src0_sel:WORD_1
	v_cvt_f32_f16_e32 v12, v13
	v_cvt_f32_f16_sdwa v13, v13 dst_sel:DWORD dst_unused:UNUSED_PAD src0_sel:WORD_1
	v_cvt_f32_f16_e32 v24, v14
	v_cvt_f32_f16_e32 v26, v15
	v_cvt_f32_f16_sdwa v27, v15 dst_sel:DWORD dst_unused:UNUSED_PAD src0_sel:WORD_1
	v_cvt_f32_f16_sdwa v25, v14 dst_sel:DWORD dst_unused:UNUSED_PAD src0_sel:WORD_1
	v_pk_mul_f32 v[12:13], v[4:5], v[12:13]
	v_pk_mul_f32 v[14:15], v[2:3], v[22:23]
	;; [unrolled: 1-line block ×4, first 2 shown]
	v_cvt_f16_f32_e32 v11, v15
	v_cvt_f16_f32_e32 v14, v14
	;; [unrolled: 1-line block ×8, first 2 shown]
	v_pack_b32_f16 v12, v12, v13
	v_pack_b32_f16 v11, v14, v11
	v_pack_b32_f16 v14, v22, v23
	v_pack_b32_f16 v22, v24, v15
	s_waitcnt vmcnt(0)
	v_pk_mul_f16 v13, v17, v12
	v_pk_mul_f16 v12, v16, v11
	v_pk_mul_f16 v15, v19, v14
	v_pk_mul_f16 v14, v18, v22
	global_store_dwordx4 v[20:21], v[12:15], off
	s_andn2_b64 exec, exec, s[0:1]
	s_cbranch_execnz .LBB21_31
.LBB21_32:
	s_endpgm
.LBB21_33:
                                        ; implicit-def: $sgpr0_sgpr1
	s_branch .LBB21_2
	.section	.rodata,"a",@progbits
	.p2align	6, 0x0
	.amdhsa_kernel _ZN4vllm15rms_norm_kernelIN3c104HalfELi8ELi3EEEvPT_PKS3_lllllS6_fii
		.amdhsa_group_segment_fixed_size 68
		.amdhsa_private_segment_fixed_size 0
		.amdhsa_kernarg_size 336
		.amdhsa_user_sgpr_count 6
		.amdhsa_user_sgpr_private_segment_buffer 1
		.amdhsa_user_sgpr_dispatch_ptr 0
		.amdhsa_user_sgpr_queue_ptr 0
		.amdhsa_user_sgpr_kernarg_segment_ptr 1
		.amdhsa_user_sgpr_dispatch_id 0
		.amdhsa_user_sgpr_flat_scratch_init 0
		.amdhsa_user_sgpr_kernarg_preload_length 0
		.amdhsa_user_sgpr_kernarg_preload_offset 0
		.amdhsa_user_sgpr_private_segment_size 0
		.amdhsa_uses_dynamic_stack 0
		.amdhsa_system_sgpr_private_segment_wavefront_offset 0
		.amdhsa_system_sgpr_workgroup_id_x 1
		.amdhsa_system_sgpr_workgroup_id_y 0
		.amdhsa_system_sgpr_workgroup_id_z 0
		.amdhsa_system_sgpr_workgroup_info 0
		.amdhsa_system_vgpr_workitem_id 0
		.amdhsa_next_free_vgpr 28
		.amdhsa_next_free_sgpr 22
		.amdhsa_accum_offset 28
		.amdhsa_reserve_vcc 1
		.amdhsa_reserve_flat_scratch 0
		.amdhsa_float_round_mode_32 0
		.amdhsa_float_round_mode_16_64 0
		.amdhsa_float_denorm_mode_32 3
		.amdhsa_float_denorm_mode_16_64 3
		.amdhsa_dx10_clamp 1
		.amdhsa_ieee_mode 1
		.amdhsa_fp16_overflow 0
		.amdhsa_tg_split 0
		.amdhsa_exception_fp_ieee_invalid_op 0
		.amdhsa_exception_fp_denorm_src 0
		.amdhsa_exception_fp_ieee_div_zero 0
		.amdhsa_exception_fp_ieee_overflow 0
		.amdhsa_exception_fp_ieee_underflow 0
		.amdhsa_exception_fp_ieee_inexact 0
		.amdhsa_exception_int_div_zero 0
	.end_amdhsa_kernel
	.section	.text._ZN4vllm15rms_norm_kernelIN3c104HalfELi8ELi3EEEvPT_PKS3_lllllS6_fii,"axG",@progbits,_ZN4vllm15rms_norm_kernelIN3c104HalfELi8ELi3EEEvPT_PKS3_lllllS6_fii,comdat
.Lfunc_end21:
	.size	_ZN4vllm15rms_norm_kernelIN3c104HalfELi8ELi3EEEvPT_PKS3_lllllS6_fii, .Lfunc_end21-_ZN4vllm15rms_norm_kernelIN3c104HalfELi8ELi3EEEvPT_PKS3_lllllS6_fii
                                        ; -- End function
	.section	.AMDGPU.csdata,"",@progbits
; Kernel info:
; codeLenInByte = 2764
; NumSgprs: 26
; NumVgprs: 28
; NumAgprs: 0
; TotalNumVgprs: 28
; ScratchSize: 0
; MemoryBound: 0
; FloatMode: 240
; IeeeMode: 1
; LDSByteSize: 68 bytes/workgroup (compile time only)
; SGPRBlocks: 3
; VGPRBlocks: 3
; NumSGPRsForWavesPerEU: 26
; NumVGPRsForWavesPerEU: 28
; AccumOffset: 28
; Occupancy: 8
; WaveLimiterHint : 0
; COMPUTE_PGM_RSRC2:SCRATCH_EN: 0
; COMPUTE_PGM_RSRC2:USER_SGPR: 6
; COMPUTE_PGM_RSRC2:TRAP_HANDLER: 0
; COMPUTE_PGM_RSRC2:TGID_X_EN: 1
; COMPUTE_PGM_RSRC2:TGID_Y_EN: 0
; COMPUTE_PGM_RSRC2:TGID_Z_EN: 0
; COMPUTE_PGM_RSRC2:TIDIG_COMP_CNT: 0
; COMPUTE_PGM_RSRC3_GFX90A:ACCUM_OFFSET: 6
; COMPUTE_PGM_RSRC3_GFX90A:TG_SPLIT: 0
	.section	.text._ZN4vllm15rms_norm_kernelIN3c104HalfELi4ELi3EEEvPT_PKS3_lllllS6_fii,"axG",@progbits,_ZN4vllm15rms_norm_kernelIN3c104HalfELi4ELi3EEEvPT_PKS3_lllllS6_fii,comdat
	.protected	_ZN4vllm15rms_norm_kernelIN3c104HalfELi4ELi3EEEvPT_PKS3_lllllS6_fii ; -- Begin function _ZN4vllm15rms_norm_kernelIN3c104HalfELi4ELi3EEEvPT_PKS3_lllllS6_fii
	.globl	_ZN4vllm15rms_norm_kernelIN3c104HalfELi4ELi3EEEvPT_PKS3_lllllS6_fii
	.p2align	8
	.type	_ZN4vllm15rms_norm_kernelIN3c104HalfELi4ELi3EEEvPT_PKS3_lllllS6_fii,@function
_ZN4vllm15rms_norm_kernelIN3c104HalfELi4ELi3EEEvPT_PKS3_lllllS6_fii: ; @_ZN4vllm15rms_norm_kernelIN3c104HalfELi4ELi3EEEvPT_PKS3_lllllS6_fii
; %bb.0:
	s_load_dwordx2 s[8:9], s[4:5], 0x28
	s_load_dwordx2 s[2:3], s[4:5], 0x8
	s_mov_b32 s0, 0
	s_waitcnt lgkmcnt(0)
	s_mov_b32 s1, s9
	s_cmp_lg_u64 s[0:1], 0
	s_cbranch_scc0 .LBB22_33
; %bb.1:
	s_ashr_i32 s10, s9, 31
	s_add_u32 s0, s8, s10
	s_mov_b32 s11, s10
	s_addc_u32 s1, s9, s10
	s_xor_b64 s[14:15], s[0:1], s[10:11]
	v_cvt_f32_u32_e32 v1, s14
	v_cvt_f32_u32_e32 v2, s15
	s_sub_u32 s0, 0, s14
	s_subb_u32 s1, 0, s15
	v_madmk_f32 v1, v2, 0x4f800000, v1
	v_rcp_f32_e32 v1, v1
	v_mul_f32_e32 v1, 0x5f7ffffc, v1
	v_mul_f32_e32 v2, 0x2f800000, v1
	v_trunc_f32_e32 v2, v2
	v_madmk_f32 v1, v2, 0xcf800000, v1
	v_cvt_u32_f32_e32 v2, v2
	v_cvt_u32_f32_e32 v1, v1
	v_readfirstlane_b32 s7, v2
	v_readfirstlane_b32 s9, v1
	s_mul_i32 s16, s0, s7
	s_mul_hi_u32 s18, s0, s9
	s_mul_i32 s17, s1, s9
	s_add_i32 s16, s18, s16
	s_add_i32 s16, s16, s17
	s_mul_i32 s19, s0, s9
	s_mul_hi_u32 s17, s9, s16
	s_mul_i32 s18, s9, s16
	s_mul_hi_u32 s9, s9, s19
	s_add_u32 s9, s9, s18
	s_addc_u32 s17, 0, s17
	s_mul_hi_u32 s20, s7, s19
	s_mul_i32 s19, s7, s19
	s_add_u32 s9, s9, s19
	s_mul_hi_u32 s18, s7, s16
	s_addc_u32 s9, s17, s20
	s_addc_u32 s17, s18, 0
	s_mul_i32 s16, s7, s16
	s_add_u32 s9, s9, s16
	s_addc_u32 s16, 0, s17
	v_add_co_u32_e32 v1, vcc, s9, v1
	s_cmp_lg_u64 vcc, 0
	s_addc_u32 s7, s7, s16
	v_readfirstlane_b32 s16, v1
	s_mul_i32 s9, s0, s7
	s_mul_hi_u32 s17, s0, s16
	s_add_i32 s9, s17, s9
	s_mul_i32 s1, s1, s16
	s_add_i32 s9, s9, s1
	s_mul_i32 s0, s0, s16
	s_mul_hi_u32 s17, s7, s0
	s_mul_i32 s18, s7, s0
	s_mul_i32 s20, s16, s9
	s_mul_hi_u32 s0, s16, s0
	s_mul_hi_u32 s19, s16, s9
	s_add_u32 s0, s0, s20
	s_addc_u32 s16, 0, s19
	s_add_u32 s0, s0, s18
	s_mul_hi_u32 s1, s7, s9
	s_addc_u32 s0, s16, s17
	s_addc_u32 s1, s1, 0
	s_mul_i32 s9, s7, s9
	s_add_u32 s0, s0, s9
	s_addc_u32 s1, 0, s1
	v_add_co_u32_e32 v1, vcc, s0, v1
	s_cmp_lg_u64 vcc, 0
	s_addc_u32 s0, s7, s1
	v_readfirstlane_b32 s7, v1
	s_mul_hi_u32 s1, s6, s0
	s_mul_i32 s0, s6, s0
	s_mul_hi_u32 s7, s6, s7
	s_add_u32 s0, s7, s0
	s_addc_u32 s1, 0, s1
	s_add_u32 s0, s0, 0
	s_addc_u32 s0, s1, 0
	s_addc_u32 s1, 0, 0
	s_add_u32 s7, s0, 0
	s_addc_u32 s9, 0, s1
	s_mul_i32 s0, s14, s9
	s_mul_hi_u32 s1, s14, s7
	s_add_i32 s0, s1, s0
	s_mul_i32 s1, s15, s7
	s_add_i32 s16, s0, s1
	s_mul_i32 s1, s14, s7
	v_mov_b32_e32 v1, s1
	s_sub_i32 s0, 0, s16
	v_sub_co_u32_e32 v1, vcc, s6, v1
	s_cmp_lg_u64 vcc, 0
	s_subb_u32 s17, s0, s15
	v_subrev_co_u32_e64 v2, s[0:1], s14, v1
	s_cmp_lg_u64 s[0:1], 0
	s_subb_u32 s0, s17, 0
	s_cmp_ge_u32 s0, s15
	v_readfirstlane_b32 s17, v2
	s_cselect_b32 s1, -1, 0
	s_cmp_ge_u32 s17, s14
	s_cselect_b32 s17, -1, 0
	s_cmp_eq_u32 s0, s15
	s_cselect_b32 s0, s17, s1
	s_add_u32 s1, s7, 1
	s_addc_u32 s17, s9, 0
	s_add_u32 s18, s7, 2
	s_addc_u32 s19, s9, 0
	s_cmp_lg_u32 s0, 0
	s_cselect_b32 s0, s18, s1
	s_cselect_b32 s1, s19, s17
	s_cmp_lg_u64 vcc, 0
	s_subb_u32 s16, 0, s16
	s_cmp_ge_u32 s16, s15
	v_readfirstlane_b32 s18, v1
	s_cselect_b32 s17, -1, 0
	s_cmp_ge_u32 s18, s14
	s_cselect_b32 s14, -1, 0
	s_cmp_eq_u32 s16, s15
	s_cselect_b32 s14, s14, s17
	s_cmp_lg_u32 s14, 0
	s_cselect_b32 s1, s1, s9
	s_cselect_b32 s0, s0, s7
	s_xor_b64 s[0:1], s[0:1], s[10:11]
	s_sub_u32 s0, s0, s10
	s_subb_u32 s1, s1, s10
	s_cbranch_execnz .LBB22_3
.LBB22_2:
	v_cvt_f32_u32_e32 v1, s8
	s_sub_i32 s0, 0, s8
	s_mov_b32 s1, 0
	v_rcp_iflag_f32_e32 v1, v1
	v_mul_f32_e32 v1, 0x4f7ffffe, v1
	v_cvt_u32_f32_e32 v1, v1
	v_readfirstlane_b32 s7, v1
	s_mul_i32 s0, s0, s7
	s_mul_hi_u32 s0, s7, s0
	s_add_i32 s7, s7, s0
	s_mul_hi_u32 s0, s6, s7
	s_mul_i32 s9, s0, s8
	s_sub_i32 s9, s6, s9
	s_add_i32 s7, s0, 1
	s_sub_i32 s10, s9, s8
	s_cmp_ge_u32 s9, s8
	s_cselect_b32 s0, s7, s0
	s_cselect_b32 s9, s10, s9
	s_add_i32 s7, s0, 1
	s_cmp_ge_u32 s9, s8
	s_cselect_b32 s0, s7, s0
.LBB22_3:
	s_mul_i32 s7, s0, s8
	s_load_dwordx4 s[8:11], s[4:5], 0x10
	s_bfe_i64 s[12:13], s[0:1], 0x200000
	s_sub_i32 s7, s6, s7
	s_load_dword s17, s[4:5], 0x48
	s_load_dword s12, s[4:5], 0x5c
	s_waitcnt lgkmcnt(0)
	s_mul_i32 s1, s0, s11
	s_mul_hi_u32 s11, s0, s10
	s_add_i32 s1, s11, s1
	s_mul_i32 s11, s13, s10
	s_add_i32 s1, s1, s11
	s_mul_i32 s0, s0, s10
	s_lshl_b64 s[0:1], s[0:1], 1
	s_add_u32 s10, s2, s0
	s_addc_u32 s11, s3, s1
	s_ashr_i32 s13, s7, 31
	s_mul_i32 s9, s7, s9
	s_mul_hi_u32 s14, s7, s8
	s_add_i32 s9, s14, s9
	s_mul_i32 s13, s13, s8
	s_add_i32 s9, s9, s13
	s_mul_i32 s8, s7, s8
	s_lshl_b64 s[8:9], s[8:9], 1
	s_add_u32 s7, s10, s8
	s_addc_u32 s18, s11, s9
	s_and_b32 s16, s12, 0xffff
	s_and_b32 s10, s7, 7
	s_mov_b32 s11, 0
	s_cmp_lg_u64 s[10:11], 0
	s_cselect_b64 s[10:11], -1, 0
	s_and_b32 s12, s17, 3
	s_cmp_lg_u32 s12, 0
	s_cselect_b64 s[12:13], -1, 0
	s_or_b64 s[10:11], s[12:13], s[10:11]
	s_and_b64 vcc, exec, s[10:11]
	s_cbranch_vccz .LBB22_17
; %bb.4:
	s_sub_i32 s10, 0, s7
	s_bfe_u32 s10, s10, 0x20001
	s_min_i32 s10, s10, s17
	v_cmp_gt_i32_e32 vcc, s10, v0
	v_mov_b32_e32 v1, 0
	s_and_saveexec_b64 s[12:13], vcc
	s_cbranch_execz .LBB22_8
; %bb.5:
	s_add_u32 s11, s8, s0
	s_addc_u32 s14, s9, s1
	s_add_u32 s11, s2, s11
	v_lshlrev_b32_e32 v1, 1, v0
	s_addc_u32 s14, s3, s14
	s_mov_b32 s19, 0
	v_mov_b32_e32 v3, s14
	v_add_co_u32_e32 v2, vcc, s11, v1
	v_addc_co_u32_e32 v3, vcc, 0, v3, vcc
	s_lshl_b32 s11, s16, 1
	s_mov_b64 s[14:15], 0
	v_mov_b32_e32 v1, 0
	v_mov_b32_e32 v4, s19
	;; [unrolled: 1-line block ×3, first 2 shown]
.LBB22_6:                               ; =>This Inner Loop Header: Depth=1
	global_load_ushort v6, v[2:3], off
	v_add_co_u32_e32 v2, vcc, s11, v2
	v_add_u32_e32 v5, s16, v5
	v_addc_co_u32_e32 v3, vcc, v3, v4, vcc
	v_cmp_le_i32_e32 vcc, s10, v5
	s_or_b64 s[14:15], vcc, s[14:15]
	s_waitcnt vmcnt(0)
	v_fma_mix_f32 v1, v6, v6, v1 op_sel_hi:[1,1,0]
	s_andn2_b64 exec, exec, s[14:15]
	s_cbranch_execnz .LBB22_6
; %bb.7:
	s_or_b64 exec, exec, s[14:15]
.LBB22_8:
	s_or_b64 exec, exec, s[12:13]
	s_sub_i32 s19, s17, s10
	s_ashr_i32 s12, s19, 31
	s_lshr_b32 s12, s12, 30
	s_add_i32 s12, s19, s12
	s_ashr_i32 s20, s12, 2
	s_ashr_i32 s11, s10, 31
	v_cmp_gt_i32_e32 vcc, s20, v0
	s_and_saveexec_b64 s[12:13], vcc
	s_cbranch_execz .LBB22_12
; %bb.9:
	s_add_u32 s21, s8, s0
	s_addc_u32 s22, s9, s1
	s_lshl_b64 s[14:15], s[10:11], 1
	s_add_u32 s14, s2, s14
	s_addc_u32 s15, s3, s15
	s_add_u32 s14, s14, s21
	v_lshlrev_b32_e32 v2, 3, v0
	s_addc_u32 s15, s15, s22
	s_mov_b32 s23, 0
	v_mov_b32_e32 v3, s15
	v_add_co_u32_e32 v2, vcc, s14, v2
	v_addc_co_u32_e32 v3, vcc, 0, v3, vcc
	s_lshl_b32 s21, s16, 3
	s_mov_b64 s[14:15], 0
	v_mov_b32_e32 v4, s23
	v_mov_b32_e32 v5, v0
.LBB22_10:                              ; =>This Inner Loop Header: Depth=1
	global_load_dwordx2 v[6:7], v[2:3], off
	v_add_co_u32_e32 v2, vcc, s21, v2
	v_add_u32_e32 v5, s16, v5
	v_addc_co_u32_e32 v3, vcc, v3, v4, vcc
	v_cmp_le_i32_e32 vcc, s20, v5
	s_or_b64 s[14:15], vcc, s[14:15]
	s_waitcnt vmcnt(0)
	v_fma_mix_f32 v1, v6, v6, v1 op_sel_hi:[1,1,0]
	v_fma_mix_f32 v1, v6, v6, v1 op_sel:[1,1,0] op_sel_hi:[1,1,0]
	v_fma_mix_f32 v1, v7, v7, v1 op_sel_hi:[1,1,0]
	v_fma_mix_f32 v1, v7, v7, v1 op_sel:[1,1,0] op_sel_hi:[1,1,0]
	s_andn2_b64 exec, exec, s[14:15]
	s_cbranch_execnz .LBB22_10
; %bb.11:
	s_or_b64 exec, exec, s[14:15]
.LBB22_12:
	s_or_b64 exec, exec, s[12:13]
	v_lshl_add_u32 v2, s20, 2, v0
	v_cmp_gt_i32_e32 vcc, s19, v2
	s_and_saveexec_b64 s[12:13], vcc
	s_cbranch_execz .LBB22_16
; %bb.13:
	s_add_u32 s14, s8, s0
	s_addc_u32 s15, s9, s1
	s_lshl_b64 s[10:11], s[10:11], 1
	s_add_u32 s10, s14, s10
	s_addc_u32 s11, s15, s11
	v_ashrrev_i32_e32 v3, 31, v2
	s_add_u32 s10, s2, s10
	v_lshlrev_b64 v[4:5], 1, v[2:3]
	s_addc_u32 s11, s3, s11
	v_mov_b32_e32 v3, s11
	v_add_co_u32_e32 v4, vcc, s10, v4
	s_mov_b32 s15, 0
	v_addc_co_u32_e32 v5, vcc, v3, v5, vcc
	s_lshl_b32 s14, s16, 1
	s_mov_b64 s[10:11], 0
	v_mov_b32_e32 v3, s15
.LBB22_14:                              ; =>This Inner Loop Header: Depth=1
	global_load_ushort v6, v[4:5], off
	v_add_co_u32_e32 v4, vcc, s14, v4
	v_add_u32_e32 v2, s16, v2
	v_addc_co_u32_e32 v5, vcc, v5, v3, vcc
	v_cmp_le_i32_e32 vcc, s19, v2
	s_or_b64 s[10:11], vcc, s[10:11]
	s_waitcnt vmcnt(0)
	v_fma_mix_f32 v1, v6, v6, v1 op_sel_hi:[1,1,0]
	s_andn2_b64 exec, exec, s[10:11]
	s_cbranch_execnz .LBB22_14
; %bb.15:
	s_or_b64 exec, exec, s[10:11]
.LBB22_16:
	s_or_b64 exec, exec, s[12:13]
	s_branch .LBB22_23
.LBB22_17:
                                        ; implicit-def: $vgpr1
	s_cbranch_execz .LBB22_23
; %bb.18:
	s_ashr_i32 s12, s17, 2
	v_cmp_gt_i32_e32 vcc, s12, v0
	v_mov_b32_e32 v1, 0
	s_and_saveexec_b64 s[10:11], vcc
	s_cbranch_execz .LBB22_22
; %bb.19:
	s_add_u32 s0, s8, s0
	s_addc_u32 s1, s9, s1
	s_add_u32 s0, s2, s0
	v_lshlrev_b32_e32 v1, 3, v0
	s_addc_u32 s1, s3, s1
	v_mov_b32_e32 v2, s1
	v_add_co_u32_e32 v1, vcc, s0, v1
	v_addc_co_u32_e32 v3, vcc, 0, v2, vcc
	s_mov_b32 s8, 0
	v_add_co_u32_e32 v2, vcc, 4, v1
	v_addc_co_u32_e32 v3, vcc, 0, v3, vcc
	s_lshl_b32 s2, s16, 3
	s_mov_b64 s[0:1], 0
	v_mov_b32_e32 v1, 0
	v_mov_b32_e32 v4, s8
	;; [unrolled: 1-line block ×3, first 2 shown]
.LBB22_20:                              ; =>This Inner Loop Header: Depth=1
	global_load_dwordx2 v[6:7], v[2:3], off offset:-4
	v_add_co_u32_e32 v2, vcc, s2, v2
	v_add_u32_e32 v5, s16, v5
	v_addc_co_u32_e32 v3, vcc, v3, v4, vcc
	v_cmp_le_i32_e32 vcc, s12, v5
	s_or_b64 s[0:1], vcc, s[0:1]
	s_waitcnt vmcnt(0)
	v_fma_mix_f32 v1, v6, v6, v1 op_sel_hi:[1,1,0]
	v_fma_mix_f32 v1, v6, v6, v1 op_sel:[1,1,0] op_sel_hi:[1,1,0]
	v_fma_mix_f32 v1, v7, v7, v1 op_sel_hi:[1,1,0]
	v_fma_mix_f32 v1, v7, v7, v1 op_sel:[1,1,0] op_sel_hi:[1,1,0]
	s_andn2_b64 exec, exec, s[0:1]
	s_cbranch_execnz .LBB22_20
; %bb.21:
	s_or_b64 exec, exec, s[0:1]
.LBB22_22:
	s_or_b64 exec, exec, s[10:11]
.LBB22_23:
	v_mbcnt_lo_u32_b32 v2, -1, 0
	v_mbcnt_hi_u32_b32 v2, -1, v2
	v_and_b32_e32 v3, 63, v2
	v_cmp_ne_u32_e32 vcc, 63, v3
	v_addc_co_u32_e32 v4, vcc, 0, v2, vcc
	v_lshlrev_b32_e32 v4, 2, v4
	ds_bpermute_b32 v4, v4, v1
	v_and_b32_e32 v5, 0x3c0, v0
	v_sub_u32_e64 v5, s16, v5 clamp
	v_add_u32_e32 v6, 1, v2
	v_cmp_lt_u32_e32 vcc, v6, v5
	s_waitcnt lgkmcnt(0)
	v_add_f32_e32 v4, v1, v4
	v_cndmask_b32_e32 v1, v1, v4, vcc
	v_cmp_gt_u32_e32 vcc, 62, v3
	v_cndmask_b32_e64 v4, 0, 1, vcc
	v_lshlrev_b32_e32 v4, 1, v4
	v_add_lshl_u32 v4, v4, v2, 2
	ds_bpermute_b32 v4, v4, v1
	v_add_u32_e32 v6, 2, v2
	v_cmp_lt_u32_e32 vcc, v6, v5
	v_add_u32_e32 v6, 4, v2
	s_waitcnt lgkmcnt(0)
	v_add_f32_e32 v4, v1, v4
	v_cndmask_b32_e32 v1, v1, v4, vcc
	v_cmp_gt_u32_e32 vcc, 60, v3
	v_cndmask_b32_e64 v4, 0, 1, vcc
	v_lshlrev_b32_e32 v4, 2, v4
	v_add_lshl_u32 v4, v4, v2, 2
	ds_bpermute_b32 v4, v4, v1
	v_cmp_lt_u32_e32 vcc, v6, v5
	v_add_u32_e32 v6, 8, v2
	s_waitcnt lgkmcnt(0)
	v_add_f32_e32 v4, v1, v4
	v_cndmask_b32_e32 v1, v1, v4, vcc
	v_cmp_gt_u32_e32 vcc, 56, v3
	v_cndmask_b32_e64 v4, 0, 1, vcc
	v_lshlrev_b32_e32 v4, 3, v4
	v_add_lshl_u32 v4, v4, v2, 2
	ds_bpermute_b32 v4, v4, v1
	;; [unrolled: 10-line block ×3, first 2 shown]
	v_cmp_lt_u32_e32 vcc, v6, v5
	s_waitcnt lgkmcnt(0)
	v_add_f32_e32 v4, v1, v4
	v_cndmask_b32_e32 v1, v1, v4, vcc
	v_cmp_gt_u32_e32 vcc, 32, v3
	v_cndmask_b32_e64 v3, 0, 1, vcc
	v_lshlrev_b32_e32 v3, 5, v3
	v_add_lshl_u32 v3, v3, v2, 2
	ds_bpermute_b32 v3, v3, v1
	v_add_u32_e32 v4, 32, v2
	v_cmp_lt_u32_e32 vcc, v4, v5
	s_waitcnt lgkmcnt(0)
	v_add_f32_e32 v3, v1, v3
	v_cndmask_b32_e32 v1, v1, v3, vcc
	v_cmp_eq_u32_e32 vcc, 0, v2
	s_and_saveexec_b64 s[0:1], vcc
	s_cbranch_execz .LBB22_25
; %bb.24:
	v_lshrrev_b32_e32 v3, 4, v0
	v_and_b32_e32 v3, 60, v3
	ds_write_b32 v3, v1
.LBB22_25:
	s_or_b64 exec, exec, s[0:1]
	v_cmp_gt_u32_e32 vcc, 16, v0
	s_waitcnt lgkmcnt(0)
	s_barrier
	s_and_saveexec_b64 s[2:3], vcc
	s_cbranch_execz .LBB22_27
; %bb.26:
	v_lshlrev_b32_e32 v1, 2, v2
	ds_read_b32 v1, v1
	v_and_b32_e32 v3, 15, v2
	v_cmp_ne_u32_e32 vcc, 15, v3
	v_addc_co_u32_e32 v4, vcc, 0, v2, vcc
	v_lshlrev_b32_e32 v4, 2, v4
	s_waitcnt lgkmcnt(0)
	ds_bpermute_b32 v4, v4, v1
	s_add_i32 s0, s16, 63
	s_lshr_b32 s8, s0, 6
	v_add_u32_e32 v5, 1, v3
	v_cmp_gt_u32_e64 s[0:1], 14, v3
	v_cmp_gt_u32_e32 vcc, s8, v5
	v_cndmask_b32_e64 v5, 0, 1, s[0:1]
	s_waitcnt lgkmcnt(0)
	v_add_f32_e32 v4, v1, v4
	v_lshlrev_b32_e32 v5, 1, v5
	v_cndmask_b32_e32 v4, v1, v4, vcc
	v_add_lshl_u32 v5, v5, v2, 2
	ds_bpermute_b32 v5, v5, v4
	v_add_u32_e32 v6, 2, v3
	v_cmp_gt_u32_e64 s[0:1], s8, v6
	v_add_u32_e32 v6, 4, v3
	s_waitcnt lgkmcnt(0)
	v_add_f32_e32 v5, v4, v5
	v_cndmask_b32_e64 v4, v4, v5, s[0:1]
	v_cmp_gt_u32_e64 s[0:1], 12, v3
	v_cndmask_b32_e64 v5, 0, 1, s[0:1]
	v_lshlrev_b32_e32 v5, 2, v5
	v_add_lshl_u32 v5, v5, v2, 2
	ds_bpermute_b32 v5, v5, v4
	v_cmp_gt_u32_e64 s[0:1], s8, v6
	s_waitcnt lgkmcnt(0)
	v_add_f32_e32 v5, v4, v5
	v_cndmask_b32_e64 v4, v4, v5, s[0:1]
	v_cmp_gt_u32_e64 s[0:1], 8, v3
	v_cndmask_b32_e64 v5, 0, 1, s[0:1]
	v_lshlrev_b32_e32 v5, 3, v5
	v_add_lshl_u32 v2, v5, v2, 2
	ds_bpermute_b32 v2, v2, v4
	v_add_u32_e32 v3, 8, v3
	v_cmp_gt_u32_e64 s[0:1], s8, v3
	s_waitcnt lgkmcnt(0)
	v_add_f32_e32 v2, v4, v2
	v_cndmask_b32_e64 v2, v4, v2, s[0:1]
	v_cndmask_b32_e32 v1, v1, v2, vcc
.LBB22_27:
	s_or_b64 exec, exec, s[2:3]
	v_cmp_eq_u32_e32 vcc, 0, v0
	s_and_saveexec_b64 s[0:1], vcc
	s_cbranch_execz .LBB22_29
; %bb.28:
	v_cvt_f32_i32_e32 v2, s17
	s_load_dword s8, s[4:5], 0x40
	v_div_scale_f32 v3, s[2:3], v2, v2, v1
	v_rcp_f32_e32 v4, v3
	v_div_scale_f32 v5, vcc, v1, v2, v1
	s_mov_b32 s2, 0x800000
	v_fma_f32 v6, -v3, v4, 1.0
	v_fmac_f32_e32 v4, v6, v4
	v_mul_f32_e32 v6, v5, v4
	v_fma_f32 v7, -v3, v6, v5
	v_fmac_f32_e32 v6, v7, v4
	v_fma_f32 v3, -v3, v6, v5
	v_div_fmas_f32 v3, v3, v4, v6
	v_div_fixup_f32 v1, v3, v2, v1
	s_waitcnt lgkmcnt(0)
	v_add_f32_e32 v1, s8, v1
	v_mul_f32_e32 v2, 0x4b800000, v1
	v_cmp_gt_f32_e32 vcc, s2, v1
	v_cndmask_b32_e32 v1, v1, v2, vcc
	v_rsq_f32_e32 v1, v1
	v_mul_f32_e32 v2, 0x45800000, v1
	v_cndmask_b32_e32 v1, v1, v2, vcc
	v_mov_b32_e32 v2, 0
	ds_write_b32 v2, v1 offset:64
.LBB22_29:
	s_or_b64 exec, exec, s[0:1]
	s_ashr_i32 s0, s17, 31
	s_lshr_b32 s0, s0, 30
	s_add_i32 s0, s17, s0
	s_ashr_i32 s8, s0, 2
	v_cmp_gt_i32_e32 vcc, s8, v0
	s_waitcnt lgkmcnt(0)
	s_barrier
	s_and_saveexec_b64 s[0:1], vcc
	s_cbranch_execz .LBB22_32
; %bb.30:
	s_load_dwordx2 s[2:3], s[4:5], 0x0
	s_load_dwordx2 s[0:1], s[4:5], 0x38
	v_mov_b32_e32 v1, 0
	ds_read_b32 v2, v1 offset:64
	s_mul_i32 s10, s6, s17
	s_mov_b32 s11, 0
	s_lshl_b64 s[4:5], s[10:11], 1
	s_waitcnt lgkmcnt(0)
	s_add_u32 s4, s2, s4
	s_addc_u32 s6, s3, s5
	v_mov_b32_e32 v3, v2
	v_lshlrev_b32_e32 v4, 3, v0
	s_lshl_b32 s5, s16, 3
	s_mov_b64 s[2:3], 0
	v_mov_b32_e32 v5, s18
	v_mov_b32_e32 v8, s1
	;; [unrolled: 1-line block ×6, first 2 shown]
.LBB22_31:                              ; =>This Inner Loop Header: Depth=1
	v_add_co_u32_e32 v12, vcc, s7, v4
	v_addc_co_u32_e32 v13, vcc, v5, v1, vcc
	global_load_dwordx2 v[12:13], v[12:13], off
	v_add_co_u32_e32 v14, vcc, s0, v4
	v_addc_co_u32_e32 v15, vcc, v8, v1, vcc
	global_load_dwordx2 v[14:15], v[14:15], off
	v_add_co_u32_e32 v16, vcc, s4, v4
	v_addc_co_u32_e32 v17, vcc, v9, v1, vcc
	v_add_co_u32_e32 v4, vcc, s5, v4
	v_add_u32_e32 v0, s16, v0
	v_addc_co_u32_e32 v1, vcc, v1, v10, vcc
	v_cmp_le_i32_e32 vcc, s8, v0
	s_or_b64 s[2:3], vcc, s[2:3]
	s_waitcnt vmcnt(1)
	v_cvt_f32_f16_e32 v18, v12
	v_cvt_f32_f16_e32 v20, v13
	v_cvt_f32_f16_sdwa v21, v13 dst_sel:DWORD dst_unused:UNUSED_PAD src0_sel:WORD_1
	v_cvt_f32_f16_sdwa v19, v12 dst_sel:DWORD dst_unused:UNUSED_PAD src0_sel:WORD_1
	v_pk_mul_f32 v[12:13], v[6:7], v[20:21]
	v_pk_mul_f32 v[18:19], v[2:3], v[18:19]
	v_cvt_f16_f32_e32 v11, v19
	v_cvt_f16_f32_e32 v13, v13
	;; [unrolled: 1-line block ×4, first 2 shown]
	v_pack_b32_f16 v12, v12, v13
	v_pack_b32_f16 v11, v18, v11
	s_waitcnt vmcnt(0)
	v_pk_mul_f16 v13, v15, v12
	v_pk_mul_f16 v12, v14, v11
	global_store_dwordx2 v[16:17], v[12:13], off
	s_andn2_b64 exec, exec, s[2:3]
	s_cbranch_execnz .LBB22_31
.LBB22_32:
	s_endpgm
.LBB22_33:
                                        ; implicit-def: $sgpr0_sgpr1
	s_branch .LBB22_2
	.section	.rodata,"a",@progbits
	.p2align	6, 0x0
	.amdhsa_kernel _ZN4vllm15rms_norm_kernelIN3c104HalfELi4ELi3EEEvPT_PKS3_lllllS6_fii
		.amdhsa_group_segment_fixed_size 68
		.amdhsa_private_segment_fixed_size 0
		.amdhsa_kernarg_size 336
		.amdhsa_user_sgpr_count 6
		.amdhsa_user_sgpr_private_segment_buffer 1
		.amdhsa_user_sgpr_dispatch_ptr 0
		.amdhsa_user_sgpr_queue_ptr 0
		.amdhsa_user_sgpr_kernarg_segment_ptr 1
		.amdhsa_user_sgpr_dispatch_id 0
		.amdhsa_user_sgpr_flat_scratch_init 0
		.amdhsa_user_sgpr_kernarg_preload_length 0
		.amdhsa_user_sgpr_kernarg_preload_offset 0
		.amdhsa_user_sgpr_private_segment_size 0
		.amdhsa_uses_dynamic_stack 0
		.amdhsa_system_sgpr_private_segment_wavefront_offset 0
		.amdhsa_system_sgpr_workgroup_id_x 1
		.amdhsa_system_sgpr_workgroup_id_y 0
		.amdhsa_system_sgpr_workgroup_id_z 0
		.amdhsa_system_sgpr_workgroup_info 0
		.amdhsa_system_vgpr_workitem_id 0
		.amdhsa_next_free_vgpr 22
		.amdhsa_next_free_sgpr 24
		.amdhsa_accum_offset 24
		.amdhsa_reserve_vcc 1
		.amdhsa_reserve_flat_scratch 0
		.amdhsa_float_round_mode_32 0
		.amdhsa_float_round_mode_16_64 0
		.amdhsa_float_denorm_mode_32 3
		.amdhsa_float_denorm_mode_16_64 3
		.amdhsa_dx10_clamp 1
		.amdhsa_ieee_mode 1
		.amdhsa_fp16_overflow 0
		.amdhsa_tg_split 0
		.amdhsa_exception_fp_ieee_invalid_op 0
		.amdhsa_exception_fp_denorm_src 0
		.amdhsa_exception_fp_ieee_div_zero 0
		.amdhsa_exception_fp_ieee_overflow 0
		.amdhsa_exception_fp_ieee_underflow 0
		.amdhsa_exception_fp_ieee_inexact 0
		.amdhsa_exception_int_div_zero 0
	.end_amdhsa_kernel
	.section	.text._ZN4vllm15rms_norm_kernelIN3c104HalfELi4ELi3EEEvPT_PKS3_lllllS6_fii,"axG",@progbits,_ZN4vllm15rms_norm_kernelIN3c104HalfELi4ELi3EEEvPT_PKS3_lllllS6_fii,comdat
.Lfunc_end22:
	.size	_ZN4vllm15rms_norm_kernelIN3c104HalfELi4ELi3EEEvPT_PKS3_lllllS6_fii, .Lfunc_end22-_ZN4vllm15rms_norm_kernelIN3c104HalfELi4ELi3EEEvPT_PKS3_lllllS6_fii
                                        ; -- End function
	.section	.AMDGPU.csdata,"",@progbits
; Kernel info:
; codeLenInByte = 2568
; NumSgprs: 28
; NumVgprs: 22
; NumAgprs: 0
; TotalNumVgprs: 22
; ScratchSize: 0
; MemoryBound: 0
; FloatMode: 240
; IeeeMode: 1
; LDSByteSize: 68 bytes/workgroup (compile time only)
; SGPRBlocks: 3
; VGPRBlocks: 2
; NumSGPRsForWavesPerEU: 28
; NumVGPRsForWavesPerEU: 22
; AccumOffset: 24
; Occupancy: 8
; WaveLimiterHint : 0
; COMPUTE_PGM_RSRC2:SCRATCH_EN: 0
; COMPUTE_PGM_RSRC2:USER_SGPR: 6
; COMPUTE_PGM_RSRC2:TRAP_HANDLER: 0
; COMPUTE_PGM_RSRC2:TGID_X_EN: 1
; COMPUTE_PGM_RSRC2:TGID_Y_EN: 0
; COMPUTE_PGM_RSRC2:TGID_Z_EN: 0
; COMPUTE_PGM_RSRC2:TIDIG_COMP_CNT: 0
; COMPUTE_PGM_RSRC3_GFX90A:ACCUM_OFFSET: 5
; COMPUTE_PGM_RSRC3_GFX90A:TG_SPLIT: 0
	.section	.text._ZN4vllm15rms_norm_kernelIN3c104HalfELi2ELi3EEEvPT_PKS3_lllllS6_fii,"axG",@progbits,_ZN4vllm15rms_norm_kernelIN3c104HalfELi2ELi3EEEvPT_PKS3_lllllS6_fii,comdat
	.protected	_ZN4vllm15rms_norm_kernelIN3c104HalfELi2ELi3EEEvPT_PKS3_lllllS6_fii ; -- Begin function _ZN4vllm15rms_norm_kernelIN3c104HalfELi2ELi3EEEvPT_PKS3_lllllS6_fii
	.globl	_ZN4vllm15rms_norm_kernelIN3c104HalfELi2ELi3EEEvPT_PKS3_lllllS6_fii
	.p2align	8
	.type	_ZN4vllm15rms_norm_kernelIN3c104HalfELi2ELi3EEEvPT_PKS3_lllllS6_fii,@function
_ZN4vllm15rms_norm_kernelIN3c104HalfELi2ELi3EEEvPT_PKS3_lllllS6_fii: ; @_ZN4vllm15rms_norm_kernelIN3c104HalfELi2ELi3EEEvPT_PKS3_lllllS6_fii
; %bb.0:
	s_load_dwordx2 s[2:3], s[4:5], 0x28
	s_load_dwordx2 s[8:9], s[4:5], 0x8
	s_mov_b32 s0, 0
	s_waitcnt lgkmcnt(0)
	s_mov_b32 s1, s3
	s_cmp_lg_u64 s[0:1], 0
	s_cbranch_scc0 .LBB23_32
; %bb.1:
	s_ashr_i32 s10, s3, 31
	s_add_u32 s0, s2, s10
	s_mov_b32 s11, s10
	s_addc_u32 s1, s3, s10
	s_xor_b64 s[14:15], s[0:1], s[10:11]
	v_cvt_f32_u32_e32 v1, s14
	v_cvt_f32_u32_e32 v2, s15
	s_sub_u32 s0, 0, s14
	s_subb_u32 s1, 0, s15
	v_madmk_f32 v1, v2, 0x4f800000, v1
	v_rcp_f32_e32 v1, v1
	v_mul_f32_e32 v1, 0x5f7ffffc, v1
	v_mul_f32_e32 v2, 0x2f800000, v1
	v_trunc_f32_e32 v2, v2
	v_madmk_f32 v1, v2, 0xcf800000, v1
	v_cvt_u32_f32_e32 v2, v2
	v_cvt_u32_f32_e32 v1, v1
	v_readfirstlane_b32 s3, v2
	v_readfirstlane_b32 s7, v1
	s_mul_i32 s16, s0, s3
	s_mul_hi_u32 s18, s0, s7
	s_mul_i32 s17, s1, s7
	s_add_i32 s16, s18, s16
	s_add_i32 s16, s16, s17
	s_mul_i32 s19, s0, s7
	s_mul_hi_u32 s17, s7, s16
	s_mul_i32 s18, s7, s16
	s_mul_hi_u32 s7, s7, s19
	s_add_u32 s7, s7, s18
	s_addc_u32 s17, 0, s17
	s_mul_hi_u32 s20, s3, s19
	s_mul_i32 s19, s3, s19
	s_add_u32 s7, s7, s19
	s_mul_hi_u32 s18, s3, s16
	s_addc_u32 s7, s17, s20
	s_addc_u32 s17, s18, 0
	s_mul_i32 s16, s3, s16
	s_add_u32 s7, s7, s16
	s_addc_u32 s16, 0, s17
	v_add_co_u32_e32 v1, vcc, s7, v1
	s_cmp_lg_u64 vcc, 0
	s_addc_u32 s3, s3, s16
	v_readfirstlane_b32 s16, v1
	s_mul_i32 s7, s0, s3
	s_mul_hi_u32 s17, s0, s16
	s_add_i32 s7, s17, s7
	s_mul_i32 s1, s1, s16
	s_add_i32 s7, s7, s1
	s_mul_i32 s0, s0, s16
	s_mul_hi_u32 s17, s3, s0
	s_mul_i32 s18, s3, s0
	s_mul_i32 s20, s16, s7
	s_mul_hi_u32 s0, s16, s0
	s_mul_hi_u32 s19, s16, s7
	s_add_u32 s0, s0, s20
	s_addc_u32 s16, 0, s19
	s_add_u32 s0, s0, s18
	s_mul_hi_u32 s1, s3, s7
	s_addc_u32 s0, s16, s17
	s_addc_u32 s1, s1, 0
	s_mul_i32 s7, s3, s7
	s_add_u32 s0, s0, s7
	s_addc_u32 s1, 0, s1
	v_add_co_u32_e32 v1, vcc, s0, v1
	s_cmp_lg_u64 vcc, 0
	s_addc_u32 s0, s3, s1
	v_readfirstlane_b32 s3, v1
	s_mul_hi_u32 s1, s6, s0
	s_mul_i32 s0, s6, s0
	s_mul_hi_u32 s3, s6, s3
	s_add_u32 s0, s3, s0
	s_addc_u32 s1, 0, s1
	s_add_u32 s0, s0, 0
	s_addc_u32 s0, s1, 0
	s_addc_u32 s1, 0, 0
	s_add_u32 s3, s0, 0
	s_addc_u32 s7, 0, s1
	s_mul_i32 s0, s14, s7
	s_mul_hi_u32 s1, s14, s3
	s_add_i32 s0, s1, s0
	s_mul_i32 s1, s15, s3
	s_add_i32 s16, s0, s1
	s_mul_i32 s1, s14, s3
	v_mov_b32_e32 v1, s1
	s_sub_i32 s0, 0, s16
	v_sub_co_u32_e32 v1, vcc, s6, v1
	s_cmp_lg_u64 vcc, 0
	s_subb_u32 s17, s0, s15
	v_subrev_co_u32_e64 v2, s[0:1], s14, v1
	s_cmp_lg_u64 s[0:1], 0
	s_subb_u32 s0, s17, 0
	s_cmp_ge_u32 s0, s15
	v_readfirstlane_b32 s17, v2
	s_cselect_b32 s1, -1, 0
	s_cmp_ge_u32 s17, s14
	s_cselect_b32 s17, -1, 0
	s_cmp_eq_u32 s0, s15
	s_cselect_b32 s0, s17, s1
	s_add_u32 s1, s3, 1
	s_addc_u32 s17, s7, 0
	s_add_u32 s18, s3, 2
	s_addc_u32 s19, s7, 0
	s_cmp_lg_u32 s0, 0
	s_cselect_b32 s0, s18, s1
	s_cselect_b32 s1, s19, s17
	s_cmp_lg_u64 vcc, 0
	s_subb_u32 s16, 0, s16
	s_cmp_ge_u32 s16, s15
	v_readfirstlane_b32 s18, v1
	s_cselect_b32 s17, -1, 0
	s_cmp_ge_u32 s18, s14
	s_cselect_b32 s14, -1, 0
	s_cmp_eq_u32 s16, s15
	s_cselect_b32 s14, s14, s17
	s_cmp_lg_u32 s14, 0
	s_cselect_b32 s1, s1, s7
	s_cselect_b32 s0, s0, s3
	s_xor_b64 s[0:1], s[0:1], s[10:11]
	s_sub_u32 s0, s0, s10
	s_subb_u32 s1, s1, s10
	s_cbranch_execnz .LBB23_3
.LBB23_2:
	v_cvt_f32_u32_e32 v1, s2
	s_sub_i32 s0, 0, s2
	s_mov_b32 s1, 0
	v_rcp_iflag_f32_e32 v1, v1
	v_mul_f32_e32 v1, 0x4f7ffffe, v1
	v_cvt_u32_f32_e32 v1, v1
	v_readfirstlane_b32 s3, v1
	s_mul_i32 s0, s0, s3
	s_mul_hi_u32 s0, s3, s0
	s_add_i32 s3, s3, s0
	s_mul_hi_u32 s0, s6, s3
	s_mul_i32 s7, s0, s2
	s_sub_i32 s7, s6, s7
	s_add_i32 s3, s0, 1
	s_sub_i32 s10, s7, s2
	s_cmp_ge_u32 s7, s2
	s_cselect_b32 s0, s3, s0
	s_cselect_b32 s7, s10, s7
	s_add_i32 s3, s0, 1
	s_cmp_ge_u32 s7, s2
	s_cselect_b32 s0, s3, s0
.LBB23_3:
	s_load_dwordx4 s[12:15], s[4:5], 0x10
	s_mul_i32 s2, s0, s2
	s_sub_i32 s10, s6, s2
	s_bfe_i64 s[2:3], s[0:1], 0x200000
	s_load_dword s7, s[4:5], 0x48
	s_load_dword s16, s[4:5], 0x5c
	s_waitcnt lgkmcnt(0)
	s_mul_i32 s1, s0, s15
	s_mul_hi_u32 s2, s0, s14
	s_add_i32 s1, s2, s1
	s_mul_i32 s2, s3, s14
	s_add_i32 s1, s1, s2
	s_mul_i32 s0, s0, s14
	s_lshl_b64 s[0:1], s[0:1], 1
	s_add_u32 s14, s8, s0
	s_addc_u32 s15, s9, s1
	s_ashr_i32 s2, s10, 31
	s_mul_i32 s3, s10, s13
	s_mul_hi_u32 s11, s10, s12
	s_add_i32 s3, s11, s3
	s_mul_i32 s2, s2, s12
	s_add_i32 s3, s3, s2
	s_mul_i32 s2, s10, s12
	s_lshl_b64 s[10:11], s[2:3], 1
	s_add_u32 s2, s14, s10
	s_addc_u32 s3, s15, s11
	s_and_b32 s18, s16, 0xffff
	s_and_b32 s12, s2, 3
	s_mov_b32 s13, 0
	s_cmp_lg_u64 s[12:13], 0
	s_cselect_b64 s[12:13], -1, 0
	s_bitcmp1_b32 s7, 0
	s_cselect_b64 s[14:15], -1, 0
	s_or_b64 s[12:13], s[14:15], s[12:13]
	s_and_b64 vcc, exec, s[12:13]
	s_cbranch_vccz .LBB23_16
; %bb.4:
	s_sub_i32 s12, 0, s2
	s_bfe_u32 s12, s12, 0x10001
	s_min_i32 s12, s12, s7
	v_cmp_gt_i32_e32 vcc, s12, v0
	v_mov_b32_e32 v1, 0
	s_and_saveexec_b64 s[14:15], vcc
	s_cbranch_execz .LBB23_7
; %bb.5:
	s_lshl_b32 s13, s18, 1
	s_mov_b32 s19, 0
	v_mov_b32_e32 v2, 0
	s_mov_b64 s[16:17], s[2:3]
	v_mov_b32_e32 v1, 0
.LBB23_6:                               ; =>This Inner Loop Header: Depth=1
	global_load_ushort v3, v2, s[16:17]
	s_add_i32 s19, s19, s18
	s_add_u32 s16, s16, s13
	s_addc_u32 s17, s17, 0
	s_cmp_ge_i32 s19, s12
	s_waitcnt vmcnt(0)
	v_fma_mix_f32 v1, v3, v3, v1 op_sel_hi:[1,1,0]
	s_cbranch_scc0 .LBB23_6
.LBB23_7:
	s_or_b64 exec, exec, s[14:15]
	s_sub_i32 s19, s7, s12
	s_lshr_b32 s14, s19, 31
	s_add_i32 s14, s19, s14
	s_ashr_i32 s20, s14, 1
	s_ashr_i32 s13, s12, 31
	v_cmp_gt_i32_e32 vcc, s20, v0
	s_and_saveexec_b64 s[14:15], vcc
	s_cbranch_execz .LBB23_11
; %bb.8:
	s_add_u32 s21, s10, s0
	s_addc_u32 s22, s11, s1
	s_lshl_b64 s[16:17], s[12:13], 1
	s_add_u32 s16, s8, s16
	s_addc_u32 s17, s9, s17
	s_add_u32 s16, s16, s21
	v_lshlrev_b32_e32 v2, 2, v0
	s_addc_u32 s17, s17, s22
	v_mov_b32_e32 v3, s17
	v_add_co_u32_e32 v2, vcc, s16, v2
	v_addc_co_u32_e32 v3, vcc, 0, v3, vcc
	s_mov_b32 s23, 0
	v_add_co_u32_e32 v2, vcc, 2, v2
	v_addc_co_u32_e32 v3, vcc, 0, v3, vcc
	s_lshl_b32 s21, s18, 2
	s_mov_b64 s[16:17], 0
	v_mov_b32_e32 v4, s23
	v_mov_b32_e32 v5, v0
.LBB23_9:                               ; =>This Inner Loop Header: Depth=1
	global_load_dword v6, v[2:3], off offset:-2
	v_add_co_u32_e32 v2, vcc, s21, v2
	v_add_u32_e32 v5, s18, v5
	v_addc_co_u32_e32 v3, vcc, v3, v4, vcc
	v_cmp_le_i32_e32 vcc, s20, v5
	s_or_b64 s[16:17], vcc, s[16:17]
	s_waitcnt vmcnt(0)
	v_fma_mix_f32 v1, v6, v6, v1 op_sel_hi:[1,1,0]
	v_fma_mix_f32 v1, v6, v6, v1 op_sel:[1,1,0] op_sel_hi:[1,1,0]
	s_andn2_b64 exec, exec, s[16:17]
	s_cbranch_execnz .LBB23_9
; %bb.10:
	s_or_b64 exec, exec, s[16:17]
.LBB23_11:
	s_or_b64 exec, exec, s[14:15]
	v_lshl_add_u32 v2, s20, 1, v0
	v_cmp_gt_i32_e32 vcc, s19, v2
	s_and_saveexec_b64 s[14:15], vcc
	s_cbranch_execz .LBB23_15
; %bb.12:
	s_add_u32 s16, s10, s0
	s_addc_u32 s17, s11, s1
	s_lshl_b64 s[12:13], s[12:13], 1
	s_add_u32 s12, s16, s12
	s_addc_u32 s13, s17, s13
	v_ashrrev_i32_e32 v3, 31, v2
	s_add_u32 s12, s8, s12
	v_lshlrev_b64 v[4:5], 1, v[2:3]
	s_addc_u32 s13, s9, s13
	v_mov_b32_e32 v3, s13
	v_add_co_u32_e32 v4, vcc, s12, v4
	s_mov_b32 s17, 0
	v_addc_co_u32_e32 v5, vcc, v3, v5, vcc
	s_lshl_b32 s16, s18, 1
	s_mov_b64 s[12:13], 0
	v_mov_b32_e32 v3, s17
.LBB23_13:                              ; =>This Inner Loop Header: Depth=1
	global_load_ushort v6, v[4:5], off
	v_add_co_u32_e32 v4, vcc, s16, v4
	v_add_u32_e32 v2, s18, v2
	v_addc_co_u32_e32 v5, vcc, v5, v3, vcc
	v_cmp_le_i32_e32 vcc, s19, v2
	s_or_b64 s[12:13], vcc, s[12:13]
	s_waitcnt vmcnt(0)
	v_fma_mix_f32 v1, v6, v6, v1 op_sel_hi:[1,1,0]
	s_andn2_b64 exec, exec, s[12:13]
	s_cbranch_execnz .LBB23_13
; %bb.14:
	s_or_b64 exec, exec, s[12:13]
.LBB23_15:
	s_or_b64 exec, exec, s[14:15]
	s_branch .LBB23_22
.LBB23_16:
                                        ; implicit-def: $vgpr1
	s_cbranch_execz .LBB23_22
; %bb.17:
	s_ashr_i32 s14, s7, 1
	v_cmp_gt_i32_e32 vcc, s14, v0
	v_mov_b32_e32 v1, 0
	s_and_saveexec_b64 s[12:13], vcc
	s_cbranch_execz .LBB23_21
; %bb.18:
	s_add_u32 s0, s10, s0
	s_addc_u32 s1, s11, s1
	s_add_u32 s0, s8, s0
	v_lshlrev_b32_e32 v1, 2, v0
	s_addc_u32 s1, s9, s1
	v_mov_b32_e32 v2, s1
	v_add_co_u32_e32 v1, vcc, s0, v1
	v_addc_co_u32_e32 v3, vcc, 0, v2, vcc
	s_mov_b32 s10, 0
	v_add_co_u32_e32 v2, vcc, 2, v1
	v_addc_co_u32_e32 v3, vcc, 0, v3, vcc
	s_lshl_b32 s8, s18, 2
	s_mov_b64 s[0:1], 0
	v_mov_b32_e32 v1, 0
	v_mov_b32_e32 v4, s10
	;; [unrolled: 1-line block ×3, first 2 shown]
.LBB23_19:                              ; =>This Inner Loop Header: Depth=1
	global_load_dword v6, v[2:3], off offset:-2
	v_add_co_u32_e32 v2, vcc, s8, v2
	v_add_u32_e32 v5, s18, v5
	v_addc_co_u32_e32 v3, vcc, v3, v4, vcc
	v_cmp_le_i32_e32 vcc, s14, v5
	s_or_b64 s[0:1], vcc, s[0:1]
	s_waitcnt vmcnt(0)
	v_fma_mix_f32 v1, v6, v6, v1 op_sel_hi:[1,1,0]
	v_fma_mix_f32 v1, v6, v6, v1 op_sel:[1,1,0] op_sel_hi:[1,1,0]
	s_andn2_b64 exec, exec, s[0:1]
	s_cbranch_execnz .LBB23_19
; %bb.20:
	s_or_b64 exec, exec, s[0:1]
.LBB23_21:
	s_or_b64 exec, exec, s[12:13]
.LBB23_22:
	v_mbcnt_lo_u32_b32 v2, -1, 0
	v_mbcnt_hi_u32_b32 v2, -1, v2
	v_and_b32_e32 v3, 63, v2
	v_cmp_ne_u32_e32 vcc, 63, v3
	v_addc_co_u32_e32 v4, vcc, 0, v2, vcc
	v_lshlrev_b32_e32 v4, 2, v4
	ds_bpermute_b32 v4, v4, v1
	v_and_b32_e32 v5, 0x3c0, v0
	v_sub_u32_e64 v5, s18, v5 clamp
	v_add_u32_e32 v6, 1, v2
	v_cmp_lt_u32_e32 vcc, v6, v5
	s_waitcnt lgkmcnt(0)
	v_add_f32_e32 v4, v1, v4
	v_cndmask_b32_e32 v1, v1, v4, vcc
	v_cmp_gt_u32_e32 vcc, 62, v3
	v_cndmask_b32_e64 v4, 0, 1, vcc
	v_lshlrev_b32_e32 v4, 1, v4
	v_add_lshl_u32 v4, v4, v2, 2
	ds_bpermute_b32 v4, v4, v1
	v_add_u32_e32 v6, 2, v2
	v_cmp_lt_u32_e32 vcc, v6, v5
	v_add_u32_e32 v6, 4, v2
	s_waitcnt lgkmcnt(0)
	v_add_f32_e32 v4, v1, v4
	v_cndmask_b32_e32 v1, v1, v4, vcc
	v_cmp_gt_u32_e32 vcc, 60, v3
	v_cndmask_b32_e64 v4, 0, 1, vcc
	v_lshlrev_b32_e32 v4, 2, v4
	v_add_lshl_u32 v4, v4, v2, 2
	ds_bpermute_b32 v4, v4, v1
	v_cmp_lt_u32_e32 vcc, v6, v5
	v_add_u32_e32 v6, 8, v2
	s_waitcnt lgkmcnt(0)
	v_add_f32_e32 v4, v1, v4
	v_cndmask_b32_e32 v1, v1, v4, vcc
	v_cmp_gt_u32_e32 vcc, 56, v3
	v_cndmask_b32_e64 v4, 0, 1, vcc
	v_lshlrev_b32_e32 v4, 3, v4
	v_add_lshl_u32 v4, v4, v2, 2
	ds_bpermute_b32 v4, v4, v1
	;; [unrolled: 10-line block ×3, first 2 shown]
	v_cmp_lt_u32_e32 vcc, v6, v5
	s_waitcnt lgkmcnt(0)
	v_add_f32_e32 v4, v1, v4
	v_cndmask_b32_e32 v1, v1, v4, vcc
	v_cmp_gt_u32_e32 vcc, 32, v3
	v_cndmask_b32_e64 v3, 0, 1, vcc
	v_lshlrev_b32_e32 v3, 5, v3
	v_add_lshl_u32 v3, v3, v2, 2
	ds_bpermute_b32 v3, v3, v1
	v_add_u32_e32 v4, 32, v2
	v_cmp_lt_u32_e32 vcc, v4, v5
	s_waitcnt lgkmcnt(0)
	v_add_f32_e32 v3, v1, v3
	v_cndmask_b32_e32 v1, v1, v3, vcc
	v_cmp_eq_u32_e32 vcc, 0, v2
	s_and_saveexec_b64 s[0:1], vcc
	s_cbranch_execz .LBB23_24
; %bb.23:
	v_lshrrev_b32_e32 v3, 4, v0
	v_and_b32_e32 v3, 60, v3
	ds_write_b32 v3, v1
.LBB23_24:
	s_or_b64 exec, exec, s[0:1]
	v_cmp_gt_u32_e32 vcc, 16, v0
	s_waitcnt lgkmcnt(0)
	s_barrier
	s_and_saveexec_b64 s[8:9], vcc
	s_cbranch_execz .LBB23_26
; %bb.25:
	v_lshlrev_b32_e32 v1, 2, v2
	ds_read_b32 v1, v1
	v_and_b32_e32 v3, 15, v2
	v_cmp_ne_u32_e32 vcc, 15, v3
	v_addc_co_u32_e32 v4, vcc, 0, v2, vcc
	v_lshlrev_b32_e32 v4, 2, v4
	s_waitcnt lgkmcnt(0)
	ds_bpermute_b32 v4, v4, v1
	s_add_i32 s0, s18, 63
	s_lshr_b32 s10, s0, 6
	v_add_u32_e32 v5, 1, v3
	v_cmp_gt_u32_e64 s[0:1], 14, v3
	v_cmp_gt_u32_e32 vcc, s10, v5
	v_cndmask_b32_e64 v5, 0, 1, s[0:1]
	s_waitcnt lgkmcnt(0)
	v_add_f32_e32 v4, v1, v4
	v_lshlrev_b32_e32 v5, 1, v5
	v_cndmask_b32_e32 v4, v1, v4, vcc
	v_add_lshl_u32 v5, v5, v2, 2
	ds_bpermute_b32 v5, v5, v4
	v_add_u32_e32 v6, 2, v3
	v_cmp_gt_u32_e64 s[0:1], s10, v6
	v_add_u32_e32 v6, 4, v3
	s_waitcnt lgkmcnt(0)
	v_add_f32_e32 v5, v4, v5
	v_cndmask_b32_e64 v4, v4, v5, s[0:1]
	v_cmp_gt_u32_e64 s[0:1], 12, v3
	v_cndmask_b32_e64 v5, 0, 1, s[0:1]
	v_lshlrev_b32_e32 v5, 2, v5
	v_add_lshl_u32 v5, v5, v2, 2
	ds_bpermute_b32 v5, v5, v4
	v_cmp_gt_u32_e64 s[0:1], s10, v6
	s_waitcnt lgkmcnt(0)
	v_add_f32_e32 v5, v4, v5
	v_cndmask_b32_e64 v4, v4, v5, s[0:1]
	v_cmp_gt_u32_e64 s[0:1], 8, v3
	v_cndmask_b32_e64 v5, 0, 1, s[0:1]
	v_lshlrev_b32_e32 v5, 3, v5
	v_add_lshl_u32 v2, v5, v2, 2
	ds_bpermute_b32 v2, v2, v4
	v_add_u32_e32 v3, 8, v3
	v_cmp_gt_u32_e64 s[0:1], s10, v3
	s_waitcnt lgkmcnt(0)
	v_add_f32_e32 v2, v4, v2
	v_cndmask_b32_e64 v2, v4, v2, s[0:1]
	v_cndmask_b32_e32 v1, v1, v2, vcc
.LBB23_26:
	s_or_b64 exec, exec, s[8:9]
	v_cmp_eq_u32_e32 vcc, 0, v0
	s_and_saveexec_b64 s[0:1], vcc
	s_cbranch_execz .LBB23_28
; %bb.27:
	v_cvt_f32_i32_e32 v2, s7
	s_load_dword s10, s[4:5], 0x40
	v_div_scale_f32 v3, s[8:9], v2, v2, v1
	v_rcp_f32_e32 v4, v3
	v_div_scale_f32 v5, vcc, v1, v2, v1
	s_mov_b32 s8, 0x800000
	v_fma_f32 v6, -v3, v4, 1.0
	v_fmac_f32_e32 v4, v6, v4
	v_mul_f32_e32 v6, v5, v4
	v_fma_f32 v7, -v3, v6, v5
	v_fmac_f32_e32 v6, v7, v4
	v_fma_f32 v3, -v3, v6, v5
	v_div_fmas_f32 v3, v3, v4, v6
	v_div_fixup_f32 v1, v3, v2, v1
	s_waitcnt lgkmcnt(0)
	v_add_f32_e32 v1, s10, v1
	v_mul_f32_e32 v2, 0x4b800000, v1
	v_cmp_gt_f32_e32 vcc, s8, v1
	v_cndmask_b32_e32 v1, v1, v2, vcc
	v_rsq_f32_e32 v1, v1
	v_mul_f32_e32 v2, 0x45800000, v1
	v_cndmask_b32_e32 v1, v1, v2, vcc
	v_mov_b32_e32 v2, 0
	ds_write_b32 v2, v1 offset:64
.LBB23_28:
	s_or_b64 exec, exec, s[0:1]
	s_lshr_b32 s0, s7, 31
	s_add_i32 s0, s7, s0
	s_ashr_i32 s12, s0, 1
	v_cmp_gt_i32_e32 vcc, s12, v0
	s_waitcnt lgkmcnt(0)
	s_barrier
	s_and_saveexec_b64 s[0:1], vcc
	s_cbranch_execz .LBB23_39
; %bb.29:
	v_cvt_f32_u32_e32 v1, s18
	s_load_dwordx2 s[0:1], s[4:5], 0x0
	s_load_dwordx2 s[8:9], s[4:5], 0x38
	s_mul_i32 s4, s6, s7
	s_mov_b32 s5, 0
	v_rcp_iflag_f32_e32 v1, v1
	s_lshl_b64 s[4:5], s[4:5], 1
	v_add_u32_e32 v3, s18, v0
	s_waitcnt lgkmcnt(0)
	s_add_u32 s13, s0, s4
	v_mul_f32_e32 v1, 0x4f7ffffe, v1
	v_cvt_u32_f32_e32 v1, v1
	v_mov_b32_e32 v5, s18
	v_cmp_gt_i32_e32 vcc, s12, v3
	s_addc_u32 s14, s1, s5
	v_max_i32_e32 v4, s12, v3
	v_addc_co_u32_e64 v3, s[0:1], v0, v5, vcc
	s_sub_i32 s0, 0, s18
	v_sub_u32_e32 v3, v4, v3
	v_mul_lo_u32 v4, s0, v1
	v_mul_hi_u32 v4, v1, v4
	v_add_u32_e32 v1, v1, v4
	v_mul_hi_u32 v1, v3, v1
	v_mul_lo_u32 v4, v1, s18
	v_sub_u32_e32 v3, v3, v4
	v_add_u32_e32 v4, 1, v1
	v_cmp_le_u32_e64 s[0:1], s18, v3
	v_cndmask_b32_e64 v1, v1, v4, s[0:1]
	v_subrev_u32_e32 v4, s18, v3
	v_mov_b32_e32 v2, 0
	v_cndmask_b32_e64 v3, v3, v4, s[0:1]
	ds_read_b32 v2, v2 offset:64
	v_add_u32_e32 v4, 1, v1
	v_cmp_le_u32_e64 s[0:1], s18, v3
	v_cndmask_b32_e64 v1, v1, v4, s[0:1]
	v_addc_co_u32_e32 v8, vcc, 1, v1, vcc
	s_cmp_lg_u32 s18, 1
	v_cmp_gt_u32_e32 vcc, 2, v8
	s_cselect_b64 s[0:1], -1, 0
	s_or_b64 s[0:1], vcc, s[0:1]
	s_mov_b64 s[4:5], 0
	s_and_saveexec_b64 s[6:7], s[0:1]
	s_xor_b64 s[0:1], exec, s[6:7]
	s_cbranch_execnz .LBB23_33
; %bb.30:
	s_andn2_saveexec_b64 s[6:7], s[0:1]
	s_cbranch_execnz .LBB23_34
.LBB23_31:
	s_or_b64 exec, exec, s[6:7]
	s_and_b64 exec, exec, s[4:5]
	s_cbranch_execnz .LBB23_37
	s_branch .LBB23_39
.LBB23_32:
                                        ; implicit-def: $sgpr0_sgpr1
	s_branch .LBB23_2
.LBB23_33:
	s_mov_b64 s[4:5], exec
                                        ; implicit-def: $vgpr8
	s_andn2_saveexec_b64 s[6:7], s[0:1]
	s_cbranch_execz .LBB23_31
.LBB23_34:
	v_and_b32_e32 v9, -2, v8
	v_add_u32_e32 v1, 1, v0
	s_waitcnt lgkmcnt(0)
	v_mov_b32_e32 v3, v2
	s_mov_b64 s[10:11], 0
	v_mov_b32_e32 v10, s3
	v_mov_b32_e32 v11, s9
	s_mov_b32 s15, 0x5040100
	s_mov_b32 s16, 0x7060302
	v_mov_b32_e32 v12, s14
	v_mov_b32_e32 v5, 0
	;; [unrolled: 1-line block ×3, first 2 shown]
	v_pk_mov_b32 v[6:7], v[0:1], v[0:1] op_sel:[0,1]
.LBB23_35:                              ; =>This Inner Loop Header: Depth=1
	v_mov_b32_e32 v4, v6
	v_lshlrev_b64 v[14:15], 2, v[4:5]
	v_add_co_u32_e32 v16, vcc, s2, v14
	v_addc_co_u32_e32 v17, vcc, v10, v15, vcc
	v_mov_b32_e32 v4, v7
	v_add_co_u32_e32 v20, vcc, s8, v14
	v_lshlrev_b64 v[18:19], 2, v[4:5]
	v_addc_co_u32_e32 v21, vcc, v11, v15, vcc
	v_add_co_u32_e32 v22, vcc, s2, v18
	v_addc_co_u32_e32 v23, vcc, v10, v19, vcc
	v_add_co_u32_e32 v24, vcc, s8, v18
	v_addc_co_u32_e32 v25, vcc, v11, v19, vcc
	global_load_dword v1, v[16:17], off
	global_load_dword v4, v[20:21], off
	;; [unrolled: 1-line block ×4, first 2 shown]
	v_add_u32_e32 v13, -2, v13
	v_cmp_eq_u32_e32 vcc, 0, v13
	s_or_b64 s[10:11], vcc, s[10:11]
	v_add_co_u32_e32 v16, vcc, s13, v18
	v_addc_co_u32_e32 v17, vcc, v12, v19, vcc
	v_add_co_u32_e64 v14, s[0:1], s13, v14
	v_add_u32_e32 v6, 2, v6
	v_add_u32_e32 v7, 2, v7
	v_addc_co_u32_e64 v15, s[0:1], v12, v15, s[0:1]
	s_waitcnt vmcnt(3)
	v_cvt_f32_f16_e32 v18, v1
	v_cvt_f32_f16_sdwa v20, v1 dst_sel:DWORD dst_unused:UNUSED_PAD src0_sel:WORD_1
	s_waitcnt vmcnt(1)
	v_cvt_f32_f16_e32 v19, v26
	v_cvt_f32_f16_sdwa v21, v26 dst_sel:DWORD dst_unused:UNUSED_PAD src0_sel:WORD_1
	s_waitcnt vmcnt(0)
	v_perm_b32 v1, v27, v4, s15
	v_perm_b32 v4, v27, v4, s16
	v_pk_mul_f32 v[18:19], v[2:3], v[18:19]
	v_pk_mul_f32 v[20:21], v[2:3], v[20:21]
	v_cvt_f16_f32_e32 v19, v19
	v_cvt_f16_f32_e32 v18, v18
	;; [unrolled: 1-line block ×4, first 2 shown]
	v_pack_b32_f16 v18, v18, v19
	v_pk_mul_f16 v1, v1, v18
	v_pack_b32_f16 v19, v20, v21
	v_pk_mul_f16 v4, v4, v19
	v_pack_b32_f16 v18, v1, v4
	v_perm_b32 v1, v4, v1, s16
	global_store_dword v[14:15], v18, off
	global_store_dword v[16:17], v1, off
	s_andn2_b64 exec, exec, s[10:11]
	s_cbranch_execnz .LBB23_35
; %bb.36:
	s_or_b64 exec, exec, s[10:11]
	v_cmp_ne_u32_e32 vcc, v8, v9
	s_andn2_b64 s[0:1], s[4:5], exec
	s_and_b64 s[4:5], vcc, exec
	v_add_u32_e32 v0, v0, v9
	s_or_b64 s[4:5], s[0:1], s[4:5]
	s_or_b64 exec, exec, s[6:7]
	s_and_b64 exec, exec, s[4:5]
	s_cbranch_execz .LBB23_39
.LBB23_37:
	s_mov_b32 s5, 0
	v_mov_b32_e32 v1, 0
	s_waitcnt lgkmcnt(0)
	v_mov_b32_e32 v3, v2
	v_lshlrev_b64 v[4:5], 2, v[0:1]
	s_lshl_b32 s4, s18, 2
	s_mov_b64 s[0:1], 0
	v_mov_b32_e32 v1, s3
	v_mov_b32_e32 v6, s9
	;; [unrolled: 1-line block ×4, first 2 shown]
.LBB23_38:                              ; =>This Inner Loop Header: Depth=1
	v_add_co_u32_e32 v10, vcc, s2, v4
	v_addc_co_u32_e32 v11, vcc, v1, v5, vcc
	global_load_dword v9, v[10:11], off
	v_add_co_u32_e32 v10, vcc, s8, v4
	v_addc_co_u32_e32 v11, vcc, v6, v5, vcc
	global_load_dword v14, v[10:11], off
	v_add_co_u32_e32 v10, vcc, s13, v4
	v_addc_co_u32_e32 v11, vcc, v7, v5, vcc
	v_add_co_u32_e32 v4, vcc, s4, v4
	v_add_u32_e32 v0, s18, v0
	v_addc_co_u32_e32 v5, vcc, v5, v8, vcc
	v_cmp_le_i32_e32 vcc, s12, v0
	s_or_b64 s[0:1], vcc, s[0:1]
	s_waitcnt vmcnt(1)
	v_cvt_f32_f16_e32 v12, v9
	v_cvt_f32_f16_sdwa v13, v9 dst_sel:DWORD dst_unused:UNUSED_PAD src0_sel:WORD_1
	v_pk_mul_f32 v[12:13], v[2:3], v[12:13]
	v_cvt_f16_f32_e32 v9, v13
	v_cvt_f16_f32_e32 v12, v12
	v_pack_b32_f16 v9, v12, v9
	s_waitcnt vmcnt(0)
	v_pk_mul_f16 v9, v14, v9
	global_store_dword v[10:11], v9, off
	s_andn2_b64 exec, exec, s[0:1]
	s_cbranch_execnz .LBB23_38
.LBB23_39:
	s_endpgm
	.section	.rodata,"a",@progbits
	.p2align	6, 0x0
	.amdhsa_kernel _ZN4vllm15rms_norm_kernelIN3c104HalfELi2ELi3EEEvPT_PKS3_lllllS6_fii
		.amdhsa_group_segment_fixed_size 68
		.amdhsa_private_segment_fixed_size 0
		.amdhsa_kernarg_size 336
		.amdhsa_user_sgpr_count 6
		.amdhsa_user_sgpr_private_segment_buffer 1
		.amdhsa_user_sgpr_dispatch_ptr 0
		.amdhsa_user_sgpr_queue_ptr 0
		.amdhsa_user_sgpr_kernarg_segment_ptr 1
		.amdhsa_user_sgpr_dispatch_id 0
		.amdhsa_user_sgpr_flat_scratch_init 0
		.amdhsa_user_sgpr_kernarg_preload_length 0
		.amdhsa_user_sgpr_kernarg_preload_offset 0
		.amdhsa_user_sgpr_private_segment_size 0
		.amdhsa_uses_dynamic_stack 0
		.amdhsa_system_sgpr_private_segment_wavefront_offset 0
		.amdhsa_system_sgpr_workgroup_id_x 1
		.amdhsa_system_sgpr_workgroup_id_y 0
		.amdhsa_system_sgpr_workgroup_id_z 0
		.amdhsa_system_sgpr_workgroup_info 0
		.amdhsa_system_vgpr_workitem_id 0
		.amdhsa_next_free_vgpr 28
		.amdhsa_next_free_sgpr 24
		.amdhsa_accum_offset 28
		.amdhsa_reserve_vcc 1
		.amdhsa_reserve_flat_scratch 0
		.amdhsa_float_round_mode_32 0
		.amdhsa_float_round_mode_16_64 0
		.amdhsa_float_denorm_mode_32 3
		.amdhsa_float_denorm_mode_16_64 3
		.amdhsa_dx10_clamp 1
		.amdhsa_ieee_mode 1
		.amdhsa_fp16_overflow 0
		.amdhsa_tg_split 0
		.amdhsa_exception_fp_ieee_invalid_op 0
		.amdhsa_exception_fp_denorm_src 0
		.amdhsa_exception_fp_ieee_div_zero 0
		.amdhsa_exception_fp_ieee_overflow 0
		.amdhsa_exception_fp_ieee_underflow 0
		.amdhsa_exception_fp_ieee_inexact 0
		.amdhsa_exception_int_div_zero 0
	.end_amdhsa_kernel
	.section	.text._ZN4vllm15rms_norm_kernelIN3c104HalfELi2ELi3EEEvPT_PKS3_lllllS6_fii,"axG",@progbits,_ZN4vllm15rms_norm_kernelIN3c104HalfELi2ELi3EEEvPT_PKS3_lllllS6_fii,comdat
.Lfunc_end23:
	.size	_ZN4vllm15rms_norm_kernelIN3c104HalfELi2ELi3EEEvPT_PKS3_lllllS6_fii, .Lfunc_end23-_ZN4vllm15rms_norm_kernelIN3c104HalfELi2ELi3EEEvPT_PKS3_lllllS6_fii
                                        ; -- End function
	.section	.AMDGPU.csdata,"",@progbits
; Kernel info:
; codeLenInByte = 3052
; NumSgprs: 28
; NumVgprs: 28
; NumAgprs: 0
; TotalNumVgprs: 28
; ScratchSize: 0
; MemoryBound: 0
; FloatMode: 240
; IeeeMode: 1
; LDSByteSize: 68 bytes/workgroup (compile time only)
; SGPRBlocks: 3
; VGPRBlocks: 3
; NumSGPRsForWavesPerEU: 28
; NumVGPRsForWavesPerEU: 28
; AccumOffset: 28
; Occupancy: 8
; WaveLimiterHint : 0
; COMPUTE_PGM_RSRC2:SCRATCH_EN: 0
; COMPUTE_PGM_RSRC2:USER_SGPR: 6
; COMPUTE_PGM_RSRC2:TRAP_HANDLER: 0
; COMPUTE_PGM_RSRC2:TGID_X_EN: 1
; COMPUTE_PGM_RSRC2:TGID_Y_EN: 0
; COMPUTE_PGM_RSRC2:TGID_Z_EN: 0
; COMPUTE_PGM_RSRC2:TIDIG_COMP_CNT: 0
; COMPUTE_PGM_RSRC3_GFX90A:ACCUM_OFFSET: 6
; COMPUTE_PGM_RSRC3_GFX90A:TG_SPLIT: 0
	.section	.text._ZN4vllm15rms_norm_kernelIN3c104HalfELi1ELi3EEEvPT_PKS3_lllllS6_fii,"axG",@progbits,_ZN4vllm15rms_norm_kernelIN3c104HalfELi1ELi3EEEvPT_PKS3_lllllS6_fii,comdat
	.protected	_ZN4vllm15rms_norm_kernelIN3c104HalfELi1ELi3EEEvPT_PKS3_lllllS6_fii ; -- Begin function _ZN4vllm15rms_norm_kernelIN3c104HalfELi1ELi3EEEvPT_PKS3_lllllS6_fii
	.globl	_ZN4vllm15rms_norm_kernelIN3c104HalfELi1ELi3EEEvPT_PKS3_lllllS6_fii
	.p2align	8
	.type	_ZN4vllm15rms_norm_kernelIN3c104HalfELi1ELi3EEEvPT_PKS3_lllllS6_fii,@function
_ZN4vllm15rms_norm_kernelIN3c104HalfELi1ELi3EEEvPT_PKS3_lllllS6_fii: ; @_ZN4vllm15rms_norm_kernelIN3c104HalfELi1ELi3EEEvPT_PKS3_lllllS6_fii
; %bb.0:
	s_load_dwordx2 s[8:9], s[4:5], 0x28
	s_load_dwordx2 s[2:3], s[4:5], 0x8
	s_mov_b32 s0, 0
	s_waitcnt lgkmcnt(0)
	s_mov_b32 s1, s9
	s_cmp_lg_u64 s[0:1], 0
	s_cbranch_scc0 .LBB24_25
; %bb.1:
	s_ashr_i32 s10, s9, 31
	s_add_u32 s0, s8, s10
	s_mov_b32 s11, s10
	s_addc_u32 s1, s9, s10
	s_xor_b64 s[14:15], s[0:1], s[10:11]
	v_cvt_f32_u32_e32 v1, s14
	v_cvt_f32_u32_e32 v2, s15
	s_sub_u32 s0, 0, s14
	s_subb_u32 s1, 0, s15
	v_madmk_f32 v1, v2, 0x4f800000, v1
	v_rcp_f32_e32 v1, v1
	v_mul_f32_e32 v1, 0x5f7ffffc, v1
	v_mul_f32_e32 v2, 0x2f800000, v1
	v_trunc_f32_e32 v2, v2
	v_madmk_f32 v1, v2, 0xcf800000, v1
	v_cvt_u32_f32_e32 v2, v2
	v_cvt_u32_f32_e32 v1, v1
	v_readfirstlane_b32 s7, v2
	v_readfirstlane_b32 s9, v1
	s_mul_i32 s16, s0, s7
	s_mul_hi_u32 s18, s0, s9
	s_mul_i32 s17, s1, s9
	s_add_i32 s16, s18, s16
	s_add_i32 s16, s16, s17
	s_mul_i32 s19, s0, s9
	s_mul_hi_u32 s17, s9, s16
	s_mul_i32 s18, s9, s16
	s_mul_hi_u32 s9, s9, s19
	s_add_u32 s9, s9, s18
	s_addc_u32 s17, 0, s17
	s_mul_hi_u32 s20, s7, s19
	s_mul_i32 s19, s7, s19
	s_add_u32 s9, s9, s19
	s_mul_hi_u32 s18, s7, s16
	s_addc_u32 s9, s17, s20
	s_addc_u32 s17, s18, 0
	s_mul_i32 s16, s7, s16
	s_add_u32 s9, s9, s16
	s_addc_u32 s16, 0, s17
	v_add_co_u32_e32 v1, vcc, s9, v1
	s_cmp_lg_u64 vcc, 0
	s_addc_u32 s7, s7, s16
	v_readfirstlane_b32 s16, v1
	s_mul_i32 s9, s0, s7
	s_mul_hi_u32 s17, s0, s16
	s_add_i32 s9, s17, s9
	s_mul_i32 s1, s1, s16
	s_add_i32 s9, s9, s1
	s_mul_i32 s0, s0, s16
	s_mul_hi_u32 s17, s7, s0
	s_mul_i32 s18, s7, s0
	s_mul_i32 s20, s16, s9
	s_mul_hi_u32 s0, s16, s0
	s_mul_hi_u32 s19, s16, s9
	s_add_u32 s0, s0, s20
	s_addc_u32 s16, 0, s19
	s_add_u32 s0, s0, s18
	s_mul_hi_u32 s1, s7, s9
	s_addc_u32 s0, s16, s17
	s_addc_u32 s1, s1, 0
	s_mul_i32 s9, s7, s9
	s_add_u32 s0, s0, s9
	s_addc_u32 s1, 0, s1
	v_add_co_u32_e32 v1, vcc, s0, v1
	s_cmp_lg_u64 vcc, 0
	s_addc_u32 s0, s7, s1
	v_readfirstlane_b32 s7, v1
	s_mul_hi_u32 s1, s6, s0
	s_mul_i32 s0, s6, s0
	s_mul_hi_u32 s7, s6, s7
	s_add_u32 s0, s7, s0
	s_addc_u32 s1, 0, s1
	s_add_u32 s0, s0, 0
	s_addc_u32 s0, s1, 0
	s_addc_u32 s1, 0, 0
	s_add_u32 s7, s0, 0
	s_addc_u32 s9, 0, s1
	s_mul_i32 s0, s14, s9
	s_mul_hi_u32 s1, s14, s7
	s_add_i32 s0, s1, s0
	s_mul_i32 s1, s15, s7
	s_add_i32 s16, s0, s1
	s_mul_i32 s1, s14, s7
	v_mov_b32_e32 v1, s1
	s_sub_i32 s0, 0, s16
	v_sub_co_u32_e32 v1, vcc, s6, v1
	s_cmp_lg_u64 vcc, 0
	s_subb_u32 s17, s0, s15
	v_subrev_co_u32_e64 v2, s[0:1], s14, v1
	s_cmp_lg_u64 s[0:1], 0
	s_subb_u32 s0, s17, 0
	s_cmp_ge_u32 s0, s15
	v_readfirstlane_b32 s17, v2
	s_cselect_b32 s1, -1, 0
	s_cmp_ge_u32 s17, s14
	s_cselect_b32 s17, -1, 0
	s_cmp_eq_u32 s0, s15
	s_cselect_b32 s0, s17, s1
	s_add_u32 s1, s7, 1
	s_addc_u32 s17, s9, 0
	s_add_u32 s18, s7, 2
	s_addc_u32 s19, s9, 0
	s_cmp_lg_u32 s0, 0
	s_cselect_b32 s0, s18, s1
	s_cselect_b32 s1, s19, s17
	s_cmp_lg_u64 vcc, 0
	s_subb_u32 s16, 0, s16
	s_cmp_ge_u32 s16, s15
	v_readfirstlane_b32 s18, v1
	s_cselect_b32 s17, -1, 0
	s_cmp_ge_u32 s18, s14
	s_cselect_b32 s14, -1, 0
	s_cmp_eq_u32 s16, s15
	s_cselect_b32 s14, s14, s17
	s_cmp_lg_u32 s14, 0
	s_cselect_b32 s1, s1, s9
	s_cselect_b32 s0, s0, s7
	s_xor_b64 s[0:1], s[0:1], s[10:11]
	s_sub_u32 s0, s0, s10
	s_subb_u32 s1, s1, s10
	s_cbranch_execnz .LBB24_3
.LBB24_2:
	v_cvt_f32_u32_e32 v1, s8
	s_sub_i32 s0, 0, s8
	s_mov_b32 s1, 0
	v_rcp_iflag_f32_e32 v1, v1
	v_mul_f32_e32 v1, 0x4f7ffffe, v1
	v_cvt_u32_f32_e32 v1, v1
	v_readfirstlane_b32 s7, v1
	s_mul_i32 s0, s0, s7
	s_mul_hi_u32 s0, s7, s0
	s_add_i32 s7, s7, s0
	s_mul_hi_u32 s0, s6, s7
	s_mul_i32 s9, s0, s8
	s_sub_i32 s9, s6, s9
	s_add_i32 s7, s0, 1
	s_sub_i32 s10, s9, s8
	s_cmp_ge_u32 s9, s8
	s_cselect_b32 s0, s7, s0
	s_cselect_b32 s9, s10, s9
	s_add_i32 s7, s0, 1
	s_cmp_ge_u32 s9, s8
	s_cselect_b32 s0, s7, s0
.LBB24_3:
	s_load_dwordx4 s[12:15], s[4:5], 0x10
	s_mul_i32 s7, s0, s8
	s_bfe_i64 s[8:9], s[0:1], 0x200000
	s_sub_i32 s10, s6, s7
	s_load_dword s7, s[4:5], 0x48
	s_load_dword s17, s[4:5], 0x5c
	s_waitcnt lgkmcnt(0)
	s_mul_i32 s1, s0, s15
	s_mul_hi_u32 s8, s0, s14
	s_add_i32 s1, s8, s1
	s_mul_i32 s8, s9, s14
	s_add_i32 s1, s1, s8
	s_mul_i32 s0, s0, s14
	s_lshl_b64 s[8:9], s[0:1], 1
	s_add_u32 s14, s2, s8
	s_addc_u32 s15, s3, s9
	s_ashr_i32 s0, s10, 31
	s_mul_i32 s1, s10, s13
	s_mul_hi_u32 s11, s10, s12
	s_add_i32 s1, s11, s1
	s_mul_i32 s0, s0, s12
	s_add_i32 s1, s1, s0
	s_mul_i32 s0, s10, s12
	s_lshl_b64 s[10:11], s[0:1], 1
	s_add_u32 s14, s14, s10
	s_addc_u32 s16, s15, s11
	s_and_b32 s15, s17, 0xffff
	s_bitcmp1_b32 s14, 0
	s_cselect_b64 s[0:1], -1, 0
	s_and_b64 vcc, exec, s[0:1]
	s_cbranch_vccz .LBB24_9
; %bb.4:
	s_min_i32 s12, s7, 0
	s_sub_i32 s17, s7, s12
	s_mov_b32 s18, 0
	v_cmp_gt_i32_e32 vcc, s17, v0
	v_mov_b32_e32 v4, 0
	s_and_saveexec_b64 s[0:1], vcc
	s_cbranch_execz .LBB24_8
; %bb.5:
	s_ashr_i32 s13, s12, 31
	s_add_u32 s19, s10, s8
	s_addc_u32 s20, s11, s9
	s_lshl_b64 s[12:13], s[12:13], 1
	s_add_u32 s12, s19, s12
	s_addc_u32 s13, s20, s13
	s_add_u32 s12, s2, s12
	v_lshlrev_b32_e32 v1, 1, v0
	s_addc_u32 s13, s3, s13
	v_mov_b32_e32 v3, s13
	v_add_co_u32_e32 v2, vcc, s12, v1
	v_addc_co_u32_e32 v3, vcc, 0, v3, vcc
	s_lshl_b32 s19, s15, 1
	s_mov_b64 s[12:13], 0
	v_mov_b32_e32 v4, 0
	v_mov_b32_e32 v1, s18
	;; [unrolled: 1-line block ×3, first 2 shown]
.LBB24_6:                               ; =>This Inner Loop Header: Depth=1
	global_load_ushort v6, v[2:3], off
	v_add_co_u32_e32 v2, vcc, s19, v2
	v_add_u32_e32 v5, s15, v5
	v_addc_co_u32_e32 v3, vcc, v3, v1, vcc
	v_cmp_le_i32_e32 vcc, s17, v5
	s_or_b64 s[12:13], vcc, s[12:13]
	s_waitcnt vmcnt(0)
	v_fma_mix_f32 v4, v6, v6, v4 op_sel_hi:[1,1,0]
	s_andn2_b64 exec, exec, s[12:13]
	s_cbranch_execnz .LBB24_6
; %bb.7:
	s_or_b64 exec, exec, s[12:13]
.LBB24_8:
	s_or_b64 exec, exec, s[0:1]
	v_cmp_gt_i32_e64 s[0:1], s7, v0
	s_cbranch_execz .LBB24_10
	s_branch .LBB24_15
.LBB24_9:
                                        ; implicit-def: $vgpr4
	v_cmp_gt_i32_e64 s[0:1], s7, v0
.LBB24_10:
	v_mov_b32_e32 v4, 0
	s_and_saveexec_b64 s[12:13], s[0:1]
	s_cbranch_execz .LBB24_14
; %bb.11:
	s_add_u32 s0, s10, s8
	s_addc_u32 s1, s11, s9
	s_add_u32 s0, s2, s0
	v_lshlrev_b32_e32 v1, 1, v0
	s_addc_u32 s1, s3, s1
	s_mov_b32 s8, 0
	v_mov_b32_e32 v3, s1
	v_add_co_u32_e32 v2, vcc, s0, v1
	v_addc_co_u32_e32 v3, vcc, 0, v3, vcc
	s_lshl_b32 s2, s15, 1
	s_mov_b64 s[0:1], 0
	v_mov_b32_e32 v4, 0
	v_mov_b32_e32 v1, s8
	;; [unrolled: 1-line block ×3, first 2 shown]
.LBB24_12:                              ; =>This Inner Loop Header: Depth=1
	global_load_ushort v6, v[2:3], off
	v_add_co_u32_e32 v2, vcc, s2, v2
	v_add_u32_e32 v5, s15, v5
	v_addc_co_u32_e32 v3, vcc, v3, v1, vcc
	v_cmp_le_i32_e32 vcc, s7, v5
	s_or_b64 s[0:1], vcc, s[0:1]
	s_waitcnt vmcnt(0)
	v_fma_mix_f32 v4, v6, v6, v4 op_sel_hi:[1,1,0]
	s_andn2_b64 exec, exec, s[0:1]
	s_cbranch_execnz .LBB24_12
; %bb.13:
	s_or_b64 exec, exec, s[0:1]
.LBB24_14:
	s_or_b64 exec, exec, s[12:13]
.LBB24_15:
	v_mbcnt_lo_u32_b32 v1, -1, 0
	v_mbcnt_hi_u32_b32 v1, -1, v1
	v_and_b32_e32 v2, 63, v1
	v_cmp_ne_u32_e32 vcc, 63, v2
	v_addc_co_u32_e32 v3, vcc, 0, v1, vcc
	v_lshlrev_b32_e32 v3, 2, v3
	ds_bpermute_b32 v3, v3, v4
	v_and_b32_e32 v5, 0x3c0, v0
	v_sub_u32_e64 v5, s15, v5 clamp
	v_add_u32_e32 v6, 1, v1
	v_cmp_lt_u32_e32 vcc, v6, v5
	s_waitcnt lgkmcnt(0)
	v_add_f32_e32 v3, v4, v3
	v_cndmask_b32_e32 v3, v4, v3, vcc
	v_cmp_gt_u32_e32 vcc, 62, v2
	v_cndmask_b32_e64 v4, 0, 1, vcc
	v_lshlrev_b32_e32 v4, 1, v4
	v_add_lshl_u32 v4, v4, v1, 2
	ds_bpermute_b32 v4, v4, v3
	v_add_u32_e32 v6, 2, v1
	v_cmp_lt_u32_e32 vcc, v6, v5
	v_add_u32_e32 v6, 4, v1
	s_waitcnt lgkmcnt(0)
	v_add_f32_e32 v4, v3, v4
	v_cndmask_b32_e32 v3, v3, v4, vcc
	v_cmp_gt_u32_e32 vcc, 60, v2
	v_cndmask_b32_e64 v4, 0, 1, vcc
	v_lshlrev_b32_e32 v4, 2, v4
	v_add_lshl_u32 v4, v4, v1, 2
	ds_bpermute_b32 v4, v4, v3
	v_cmp_lt_u32_e32 vcc, v6, v5
	v_add_u32_e32 v6, 8, v1
	s_waitcnt lgkmcnt(0)
	v_add_f32_e32 v4, v3, v4
	v_cndmask_b32_e32 v3, v3, v4, vcc
	v_cmp_gt_u32_e32 vcc, 56, v2
	v_cndmask_b32_e64 v4, 0, 1, vcc
	v_lshlrev_b32_e32 v4, 3, v4
	v_add_lshl_u32 v4, v4, v1, 2
	ds_bpermute_b32 v4, v4, v3
	v_cmp_lt_u32_e32 vcc, v6, v5
	v_add_u32_e32 v6, 16, v1
	s_waitcnt lgkmcnt(0)
	v_add_f32_e32 v4, v3, v4
	v_cndmask_b32_e32 v3, v3, v4, vcc
	v_cmp_gt_u32_e32 vcc, 48, v2
	v_cndmask_b32_e64 v4, 0, 1, vcc
	v_lshlrev_b32_e32 v4, 4, v4
	v_add_lshl_u32 v4, v4, v1, 2
	ds_bpermute_b32 v4, v4, v3
	v_cmp_lt_u32_e32 vcc, v6, v5
	s_waitcnt lgkmcnt(0)
	v_add_f32_e32 v4, v3, v4
	v_cndmask_b32_e32 v3, v3, v4, vcc
	v_cmp_gt_u32_e32 vcc, 32, v2
	v_cndmask_b32_e64 v2, 0, 1, vcc
	v_lshlrev_b32_e32 v2, 5, v2
	v_add_lshl_u32 v2, v2, v1, 2
	ds_bpermute_b32 v2, v2, v3
	v_add_u32_e32 v4, 32, v1
	v_cmp_lt_u32_e32 vcc, v4, v5
	s_waitcnt lgkmcnt(0)
	v_add_f32_e32 v2, v3, v2
	v_cndmask_b32_e32 v2, v3, v2, vcc
	v_cmp_eq_u32_e32 vcc, 0, v1
	s_and_saveexec_b64 s[0:1], vcc
	s_cbranch_execz .LBB24_17
; %bb.16:
	v_lshrrev_b32_e32 v3, 4, v0
	v_and_b32_e32 v3, 60, v3
	ds_write_b32 v3, v2
.LBB24_17:
	s_or_b64 exec, exec, s[0:1]
	v_cmp_gt_u32_e32 vcc, 16, v0
	s_waitcnt lgkmcnt(0)
	s_barrier
	s_and_saveexec_b64 s[2:3], vcc
	s_cbranch_execz .LBB24_19
; %bb.18:
	v_lshlrev_b32_e32 v2, 2, v1
	ds_read_b32 v2, v2
	v_and_b32_e32 v3, 15, v1
	v_cmp_ne_u32_e32 vcc, 15, v3
	v_addc_co_u32_e32 v4, vcc, 0, v1, vcc
	v_lshlrev_b32_e32 v4, 2, v4
	s_waitcnt lgkmcnt(0)
	ds_bpermute_b32 v4, v4, v2
	s_add_i32 s0, s15, 63
	s_lshr_b32 s8, s0, 6
	v_add_u32_e32 v5, 1, v3
	v_cmp_gt_u32_e64 s[0:1], 14, v3
	v_cmp_gt_u32_e32 vcc, s8, v5
	v_cndmask_b32_e64 v5, 0, 1, s[0:1]
	s_waitcnt lgkmcnt(0)
	v_add_f32_e32 v4, v2, v4
	v_lshlrev_b32_e32 v5, 1, v5
	v_cndmask_b32_e32 v4, v2, v4, vcc
	v_add_lshl_u32 v5, v5, v1, 2
	ds_bpermute_b32 v5, v5, v4
	v_add_u32_e32 v6, 2, v3
	v_cmp_gt_u32_e64 s[0:1], s8, v6
	v_add_u32_e32 v6, 4, v3
	s_waitcnt lgkmcnt(0)
	v_add_f32_e32 v5, v4, v5
	v_cndmask_b32_e64 v4, v4, v5, s[0:1]
	v_cmp_gt_u32_e64 s[0:1], 12, v3
	v_cndmask_b32_e64 v5, 0, 1, s[0:1]
	v_lshlrev_b32_e32 v5, 2, v5
	v_add_lshl_u32 v5, v5, v1, 2
	ds_bpermute_b32 v5, v5, v4
	v_cmp_gt_u32_e64 s[0:1], s8, v6
	s_waitcnt lgkmcnt(0)
	v_add_f32_e32 v5, v4, v5
	v_cndmask_b32_e64 v4, v4, v5, s[0:1]
	v_cmp_gt_u32_e64 s[0:1], 8, v3
	v_cndmask_b32_e64 v5, 0, 1, s[0:1]
	v_lshlrev_b32_e32 v5, 3, v5
	v_add_lshl_u32 v1, v5, v1, 2
	ds_bpermute_b32 v1, v1, v4
	v_add_u32_e32 v3, 8, v3
	v_cmp_gt_u32_e64 s[0:1], s8, v3
	s_waitcnt lgkmcnt(0)
	v_add_f32_e32 v1, v4, v1
	v_cndmask_b32_e64 v1, v4, v1, s[0:1]
	v_cndmask_b32_e32 v2, v2, v1, vcc
.LBB24_19:
	s_or_b64 exec, exec, s[2:3]
	v_cmp_eq_u32_e32 vcc, 0, v0
	s_and_saveexec_b64 s[0:1], vcc
	s_cbranch_execz .LBB24_21
; %bb.20:
	v_cvt_f32_i32_e32 v1, s7
	s_load_dword s8, s[4:5], 0x40
	v_div_scale_f32 v3, s[2:3], v1, v1, v2
	v_rcp_f32_e32 v4, v3
	v_div_scale_f32 v5, vcc, v2, v1, v2
	s_mov_b32 s2, 0x800000
	v_fma_f32 v6, -v3, v4, 1.0
	v_fmac_f32_e32 v4, v6, v4
	v_mul_f32_e32 v6, v5, v4
	v_fma_f32 v7, -v3, v6, v5
	v_fmac_f32_e32 v6, v7, v4
	v_fma_f32 v3, -v3, v6, v5
	v_div_fmas_f32 v3, v3, v4, v6
	v_div_fixup_f32 v1, v3, v1, v2
	s_waitcnt lgkmcnt(0)
	v_add_f32_e32 v1, s8, v1
	v_mul_f32_e32 v2, 0x4b800000, v1
	v_cmp_gt_f32_e32 vcc, s2, v1
	v_cndmask_b32_e32 v1, v1, v2, vcc
	v_rsq_f32_e32 v1, v1
	v_mul_f32_e32 v2, 0x45800000, v1
	v_cndmask_b32_e32 v1, v1, v2, vcc
	v_mov_b32_e32 v2, 0
	ds_write_b32 v2, v1 offset:64
.LBB24_21:
	s_or_b64 exec, exec, s[0:1]
	v_cmp_gt_i32_e32 vcc, s7, v0
	s_waitcnt lgkmcnt(0)
	s_barrier
	s_and_saveexec_b64 s[0:1], vcc
	s_cbranch_execz .LBB24_24
; %bb.22:
	s_load_dwordx2 s[2:3], s[4:5], 0x0
	s_load_dwordx2 s[0:1], s[4:5], 0x38
	v_mov_b32_e32 v1, 0
	s_mul_i32 s4, s6, s7
	s_mov_b32 s5, 0
	ds_read_b32 v2, v1 offset:64
	s_lshl_b64 s[4:5], s[4:5], 1
	s_waitcnt lgkmcnt(0)
	s_add_u32 s4, s2, s4
	s_addc_u32 s5, s3, s5
	s_mov_b64 s[2:3], 0
	v_mov_b32_e32 v3, s16
	v_mov_b32_e32 v4, s1
	;; [unrolled: 1-line block ×3, first 2 shown]
.LBB24_23:                              ; =>This Inner Loop Header: Depth=1
	v_ashrrev_i32_e32 v1, 31, v0
	v_lshlrev_b64 v[6:7], 1, v[0:1]
	v_add_co_u32_e32 v8, vcc, s14, v6
	v_addc_co_u32_e32 v9, vcc, v3, v7, vcc
	global_load_ushort v1, v[8:9], off
	v_add_co_u32_e32 v8, vcc, s0, v6
	v_addc_co_u32_e32 v9, vcc, v4, v7, vcc
	global_load_ushort v8, v[8:9], off
	v_add_co_u32_e32 v6, vcc, s4, v6
	v_add_u32_e32 v0, s15, v0
	v_addc_co_u32_e32 v7, vcc, v5, v7, vcc
	v_cmp_le_i32_e32 vcc, s7, v0
	s_or_b64 s[2:3], vcc, s[2:3]
	s_waitcnt vmcnt(1)
	v_fma_mixlo_f16 v1, v2, v1, 0 op_sel_hi:[0,1,0]
	s_waitcnt vmcnt(0)
	v_mul_f16_e32 v1, v8, v1
	global_store_short v[6:7], v1, off
	s_andn2_b64 exec, exec, s[2:3]
	s_cbranch_execnz .LBB24_23
.LBB24_24:
	s_endpgm
.LBB24_25:
                                        ; implicit-def: $sgpr0_sgpr1
	s_branch .LBB24_2
	.section	.rodata,"a",@progbits
	.p2align	6, 0x0
	.amdhsa_kernel _ZN4vllm15rms_norm_kernelIN3c104HalfELi1ELi3EEEvPT_PKS3_lllllS6_fii
		.amdhsa_group_segment_fixed_size 68
		.amdhsa_private_segment_fixed_size 0
		.amdhsa_kernarg_size 336
		.amdhsa_user_sgpr_count 6
		.amdhsa_user_sgpr_private_segment_buffer 1
		.amdhsa_user_sgpr_dispatch_ptr 0
		.amdhsa_user_sgpr_queue_ptr 0
		.amdhsa_user_sgpr_kernarg_segment_ptr 1
		.amdhsa_user_sgpr_dispatch_id 0
		.amdhsa_user_sgpr_flat_scratch_init 0
		.amdhsa_user_sgpr_kernarg_preload_length 0
		.amdhsa_user_sgpr_kernarg_preload_offset 0
		.amdhsa_user_sgpr_private_segment_size 0
		.amdhsa_uses_dynamic_stack 0
		.amdhsa_system_sgpr_private_segment_wavefront_offset 0
		.amdhsa_system_sgpr_workgroup_id_x 1
		.amdhsa_system_sgpr_workgroup_id_y 0
		.amdhsa_system_sgpr_workgroup_id_z 0
		.amdhsa_system_sgpr_workgroup_info 0
		.amdhsa_system_vgpr_workitem_id 0
		.amdhsa_next_free_vgpr 10
		.amdhsa_next_free_sgpr 21
		.amdhsa_accum_offset 12
		.amdhsa_reserve_vcc 1
		.amdhsa_reserve_flat_scratch 0
		.amdhsa_float_round_mode_32 0
		.amdhsa_float_round_mode_16_64 0
		.amdhsa_float_denorm_mode_32 3
		.amdhsa_float_denorm_mode_16_64 3
		.amdhsa_dx10_clamp 1
		.amdhsa_ieee_mode 1
		.amdhsa_fp16_overflow 0
		.amdhsa_tg_split 0
		.amdhsa_exception_fp_ieee_invalid_op 0
		.amdhsa_exception_fp_denorm_src 0
		.amdhsa_exception_fp_ieee_div_zero 0
		.amdhsa_exception_fp_ieee_overflow 0
		.amdhsa_exception_fp_ieee_underflow 0
		.amdhsa_exception_fp_ieee_inexact 0
		.amdhsa_exception_int_div_zero 0
	.end_amdhsa_kernel
	.section	.text._ZN4vllm15rms_norm_kernelIN3c104HalfELi1ELi3EEEvPT_PKS3_lllllS6_fii,"axG",@progbits,_ZN4vllm15rms_norm_kernelIN3c104HalfELi1ELi3EEEvPT_PKS3_lllllS6_fii,comdat
.Lfunc_end24:
	.size	_ZN4vllm15rms_norm_kernelIN3c104HalfELi1ELi3EEEvPT_PKS3_lllllS6_fii, .Lfunc_end24-_ZN4vllm15rms_norm_kernelIN3c104HalfELi1ELi3EEEvPT_PKS3_lllllS6_fii
                                        ; -- End function
	.section	.AMDGPU.csdata,"",@progbits
; Kernel info:
; codeLenInByte = 2092
; NumSgprs: 25
; NumVgprs: 10
; NumAgprs: 0
; TotalNumVgprs: 10
; ScratchSize: 0
; MemoryBound: 0
; FloatMode: 240
; IeeeMode: 1
; LDSByteSize: 68 bytes/workgroup (compile time only)
; SGPRBlocks: 3
; VGPRBlocks: 1
; NumSGPRsForWavesPerEU: 25
; NumVGPRsForWavesPerEU: 10
; AccumOffset: 12
; Occupancy: 8
; WaveLimiterHint : 0
; COMPUTE_PGM_RSRC2:SCRATCH_EN: 0
; COMPUTE_PGM_RSRC2:USER_SGPR: 6
; COMPUTE_PGM_RSRC2:TRAP_HANDLER: 0
; COMPUTE_PGM_RSRC2:TGID_X_EN: 1
; COMPUTE_PGM_RSRC2:TGID_Y_EN: 0
; COMPUTE_PGM_RSRC2:TGID_Z_EN: 0
; COMPUTE_PGM_RSRC2:TIDIG_COMP_CNT: 0
; COMPUTE_PGM_RSRC3_GFX90A:ACCUM_OFFSET: 2
; COMPUTE_PGM_RSRC3_GFX90A:TG_SPLIT: 0
	.section	.text._ZN4vllm15rms_norm_kernelIN3c108BFloat16ELi16ELi3EEEvPT_PKS3_lllllS6_fii,"axG",@progbits,_ZN4vllm15rms_norm_kernelIN3c108BFloat16ELi16ELi3EEEvPT_PKS3_lllllS6_fii,comdat
	.protected	_ZN4vllm15rms_norm_kernelIN3c108BFloat16ELi16ELi3EEEvPT_PKS3_lllllS6_fii ; -- Begin function _ZN4vllm15rms_norm_kernelIN3c108BFloat16ELi16ELi3EEEvPT_PKS3_lllllS6_fii
	.globl	_ZN4vllm15rms_norm_kernelIN3c108BFloat16ELi16ELi3EEEvPT_PKS3_lllllS6_fii
	.p2align	8
	.type	_ZN4vllm15rms_norm_kernelIN3c108BFloat16ELi16ELi3EEEvPT_PKS3_lllllS6_fii,@function
_ZN4vllm15rms_norm_kernelIN3c108BFloat16ELi16ELi3EEEvPT_PKS3_lllllS6_fii: ; @_ZN4vllm15rms_norm_kernelIN3c108BFloat16ELi16ELi3EEEvPT_PKS3_lllllS6_fii
; %bb.0:
	s_load_dwordx2 s[8:9], s[4:5], 0x28
	s_load_dwordx2 s[2:3], s[4:5], 0x8
	s_mov_b32 s0, 0
	s_waitcnt lgkmcnt(0)
	s_mov_b32 s1, s9
	s_cmp_lg_u64 s[0:1], 0
	s_cbranch_scc0 .LBB25_38
; %bb.1:
	s_ashr_i32 s10, s9, 31
	s_add_u32 s0, s8, s10
	s_mov_b32 s11, s10
	s_addc_u32 s1, s9, s10
	s_xor_b64 s[14:15], s[0:1], s[10:11]
	v_cvt_f32_u32_e32 v1, s14
	v_cvt_f32_u32_e32 v2, s15
	s_sub_u32 s0, 0, s14
	s_subb_u32 s1, 0, s15
	v_madmk_f32 v1, v2, 0x4f800000, v1
	v_rcp_f32_e32 v1, v1
	v_mul_f32_e32 v1, 0x5f7ffffc, v1
	v_mul_f32_e32 v2, 0x2f800000, v1
	v_trunc_f32_e32 v2, v2
	v_madmk_f32 v1, v2, 0xcf800000, v1
	v_cvt_u32_f32_e32 v2, v2
	v_cvt_u32_f32_e32 v1, v1
	v_readfirstlane_b32 s7, v2
	v_readfirstlane_b32 s9, v1
	s_mul_i32 s16, s0, s7
	s_mul_hi_u32 s18, s0, s9
	s_mul_i32 s17, s1, s9
	s_add_i32 s16, s18, s16
	s_add_i32 s16, s16, s17
	s_mul_i32 s19, s0, s9
	s_mul_hi_u32 s17, s9, s16
	s_mul_i32 s18, s9, s16
	s_mul_hi_u32 s9, s9, s19
	s_add_u32 s9, s9, s18
	s_addc_u32 s17, 0, s17
	s_mul_hi_u32 s20, s7, s19
	s_mul_i32 s19, s7, s19
	s_add_u32 s9, s9, s19
	s_mul_hi_u32 s18, s7, s16
	s_addc_u32 s9, s17, s20
	s_addc_u32 s17, s18, 0
	s_mul_i32 s16, s7, s16
	s_add_u32 s9, s9, s16
	s_addc_u32 s16, 0, s17
	v_add_co_u32_e32 v1, vcc, s9, v1
	s_cmp_lg_u64 vcc, 0
	s_addc_u32 s7, s7, s16
	v_readfirstlane_b32 s16, v1
	s_mul_i32 s9, s0, s7
	s_mul_hi_u32 s17, s0, s16
	s_add_i32 s9, s17, s9
	s_mul_i32 s1, s1, s16
	s_add_i32 s9, s9, s1
	s_mul_i32 s0, s0, s16
	s_mul_hi_u32 s17, s7, s0
	s_mul_i32 s18, s7, s0
	s_mul_i32 s20, s16, s9
	s_mul_hi_u32 s0, s16, s0
	s_mul_hi_u32 s19, s16, s9
	s_add_u32 s0, s0, s20
	s_addc_u32 s16, 0, s19
	s_add_u32 s0, s0, s18
	s_mul_hi_u32 s1, s7, s9
	s_addc_u32 s0, s16, s17
	s_addc_u32 s1, s1, 0
	s_mul_i32 s9, s7, s9
	s_add_u32 s0, s0, s9
	s_addc_u32 s1, 0, s1
	v_add_co_u32_e32 v1, vcc, s0, v1
	s_cmp_lg_u64 vcc, 0
	s_addc_u32 s0, s7, s1
	v_readfirstlane_b32 s7, v1
	s_mul_hi_u32 s1, s6, s0
	s_mul_i32 s0, s6, s0
	s_mul_hi_u32 s7, s6, s7
	s_add_u32 s0, s7, s0
	s_addc_u32 s1, 0, s1
	s_add_u32 s0, s0, 0
	s_addc_u32 s0, s1, 0
	s_addc_u32 s1, 0, 0
	s_add_u32 s7, s0, 0
	s_addc_u32 s9, 0, s1
	s_mul_i32 s0, s14, s9
	s_mul_hi_u32 s1, s14, s7
	s_add_i32 s0, s1, s0
	s_mul_i32 s1, s15, s7
	s_add_i32 s16, s0, s1
	s_mul_i32 s1, s14, s7
	v_mov_b32_e32 v1, s1
	s_sub_i32 s0, 0, s16
	v_sub_co_u32_e32 v1, vcc, s6, v1
	s_cmp_lg_u64 vcc, 0
	s_subb_u32 s17, s0, s15
	v_subrev_co_u32_e64 v2, s[0:1], s14, v1
	s_cmp_lg_u64 s[0:1], 0
	s_subb_u32 s0, s17, 0
	s_cmp_ge_u32 s0, s15
	v_readfirstlane_b32 s17, v2
	s_cselect_b32 s1, -1, 0
	s_cmp_ge_u32 s17, s14
	s_cselect_b32 s17, -1, 0
	s_cmp_eq_u32 s0, s15
	s_cselect_b32 s0, s17, s1
	s_add_u32 s1, s7, 1
	s_addc_u32 s17, s9, 0
	s_add_u32 s18, s7, 2
	s_addc_u32 s19, s9, 0
	s_cmp_lg_u32 s0, 0
	s_cselect_b32 s0, s18, s1
	s_cselect_b32 s1, s19, s17
	s_cmp_lg_u64 vcc, 0
	s_subb_u32 s16, 0, s16
	s_cmp_ge_u32 s16, s15
	v_readfirstlane_b32 s18, v1
	s_cselect_b32 s17, -1, 0
	s_cmp_ge_u32 s18, s14
	s_cselect_b32 s14, -1, 0
	s_cmp_eq_u32 s16, s15
	s_cselect_b32 s14, s14, s17
	s_cmp_lg_u32 s14, 0
	s_cselect_b32 s1, s1, s9
	s_cselect_b32 s0, s0, s7
	s_xor_b64 s[0:1], s[0:1], s[10:11]
	s_sub_u32 s0, s0, s10
	s_subb_u32 s1, s1, s10
	s_cbranch_execnz .LBB25_3
.LBB25_2:
	v_cvt_f32_u32_e32 v1, s8
	s_sub_i32 s0, 0, s8
	s_mov_b32 s1, 0
	v_rcp_iflag_f32_e32 v1, v1
	v_mul_f32_e32 v1, 0x4f7ffffe, v1
	v_cvt_u32_f32_e32 v1, v1
	v_readfirstlane_b32 s7, v1
	s_mul_i32 s0, s0, s7
	s_mul_hi_u32 s0, s7, s0
	s_add_i32 s7, s7, s0
	s_mul_hi_u32 s0, s6, s7
	s_mul_i32 s9, s0, s8
	s_sub_i32 s9, s6, s9
	s_add_i32 s7, s0, 1
	s_sub_i32 s10, s9, s8
	s_cmp_ge_u32 s9, s8
	s_cselect_b32 s0, s7, s0
	s_cselect_b32 s9, s10, s9
	s_add_i32 s7, s0, 1
	s_cmp_ge_u32 s9, s8
	s_cselect_b32 s0, s7, s0
.LBB25_3:
	s_mul_i32 s7, s0, s8
	s_load_dwordx4 s[8:11], s[4:5], 0x10
	s_bfe_i64 s[12:13], s[0:1], 0x200000
	s_sub_i32 s14, s6, s7
	s_load_dword s7, s[4:5], 0x48
	s_load_dword s12, s[4:5], 0x5c
	s_waitcnt lgkmcnt(0)
	s_mul_i32 s1, s0, s11
	s_mul_hi_u32 s11, s0, s10
	s_add_i32 s1, s11, s1
	s_mul_i32 s11, s13, s10
	s_add_i32 s1, s1, s11
	s_mul_i32 s0, s0, s10
	s_lshl_b64 s[0:1], s[0:1], 1
	s_add_u32 s10, s2, s0
	s_addc_u32 s11, s3, s1
	s_ashr_i32 s13, s14, 31
	s_mul_i32 s9, s14, s9
	s_mul_hi_u32 s15, s14, s8
	s_add_i32 s9, s15, s9
	s_mul_i32 s13, s13, s8
	s_add_i32 s9, s9, s13
	s_mul_i32 s8, s14, s8
	s_lshl_b64 s[8:9], s[8:9], 1
	s_add_u32 s33, s10, s8
	s_addc_u32 s36, s11, s9
	s_and_b32 s37, s12, 0xffff
	s_and_b32 s10, s33, 31
	s_mov_b32 s11, 0
	s_cmp_lg_u64 s[10:11], 0
	s_cselect_b64 s[10:11], -1, 0
	s_and_b32 s12, s7, 15
	s_cmp_lg_u32 s12, 0
	s_cselect_b64 s[12:13], -1, 0
	s_or_b64 s[10:11], s[12:13], s[10:11]
	s_and_b64 vcc, exec, s[10:11]
	s_cbranch_vccz .LBB25_17
; %bb.4:
	s_sub_i32 s10, 0, s33
	s_bfe_u32 s10, s10, 0x40001
	s_min_i32 s10, s10, s7
	v_cmp_gt_i32_e32 vcc, s10, v0
	v_mov_b32_e32 v1, 0
	s_and_saveexec_b64 s[12:13], vcc
	s_cbranch_execz .LBB25_8
; %bb.5:
	s_add_u32 s11, s8, s0
	s_addc_u32 s14, s9, s1
	s_add_u32 s11, s2, s11
	v_lshlrev_b32_e32 v1, 1, v0
	s_addc_u32 s14, s3, s14
	s_mov_b32 s16, 0
	v_mov_b32_e32 v3, s14
	v_add_co_u32_e32 v2, vcc, s11, v1
	v_addc_co_u32_e32 v3, vcc, 0, v3, vcc
	s_lshl_b32 s11, s37, 1
	s_mov_b64 s[14:15], 0
	v_mov_b32_e32 v1, 0
	v_mov_b32_e32 v4, s16
	;; [unrolled: 1-line block ×3, first 2 shown]
.LBB25_6:                               ; =>This Inner Loop Header: Depth=1
	global_load_ushort v6, v[2:3], off
	v_add_co_u32_e32 v2, vcc, s11, v2
	v_add_u32_e32 v5, s37, v5
	v_addc_co_u32_e32 v3, vcc, v3, v4, vcc
	v_cmp_le_i32_e32 vcc, s10, v5
	s_or_b64 s[14:15], vcc, s[14:15]
	s_waitcnt vmcnt(0)
	v_lshlrev_b32_e32 v6, 16, v6
	v_fmac_f32_e32 v1, v6, v6
	s_andn2_b64 exec, exec, s[14:15]
	s_cbranch_execnz .LBB25_6
; %bb.7:
	s_or_b64 exec, exec, s[14:15]
.LBB25_8:
	s_or_b64 exec, exec, s[12:13]
	s_sub_i32 s16, s7, s10
	s_ashr_i32 s12, s16, 31
	s_lshr_b32 s12, s12, 28
	s_add_i32 s12, s16, s12
	s_ashr_i32 s17, s12, 4
	s_ashr_i32 s11, s10, 31
	v_cmp_gt_i32_e32 vcc, s17, v0
	s_and_saveexec_b64 s[12:13], vcc
	s_cbranch_execz .LBB25_12
; %bb.9:
	s_add_u32 s18, s8, s0
	s_addc_u32 s19, s9, s1
	s_lshl_b64 s[14:15], s[10:11], 1
	s_add_u32 s14, s2, s14
	s_addc_u32 s15, s3, s15
	s_add_u32 s14, s14, s18
	v_lshlrev_b32_e32 v2, 5, v0
	s_addc_u32 s15, s15, s19
	s_mov_b32 s20, 0
	v_mov_b32_e32 v3, s15
	v_add_co_u32_e32 v2, vcc, s14, v2
	v_addc_co_u32_e32 v3, vcc, 0, v3, vcc
	s_lshl_b32 s18, s37, 5
	s_mov_b64 s[14:15], 0
	v_mov_b32_e32 v4, s20
	v_mov_b32_e32 v5, v0
.LBB25_10:                              ; =>This Inner Loop Header: Depth=1
	global_load_dwordx4 v[6:9], v[2:3], off
	global_load_dwordx4 v[10:13], v[2:3], off offset:16
	v_add_co_u32_e32 v2, vcc, s18, v2
	v_add_u32_e32 v5, s37, v5
	v_addc_co_u32_e32 v3, vcc, v3, v4, vcc
	v_cmp_le_i32_e32 vcc, s17, v5
	s_or_b64 s[14:15], vcc, s[14:15]
	s_waitcnt vmcnt(1)
	v_lshlrev_b32_e32 v20, 16, v6
	v_and_b32_e32 v21, 0xffff0000, v6
	v_fmac_f32_e32 v1, v20, v20
	v_lshlrev_b32_e32 v22, 16, v7
	v_fmac_f32_e32 v1, v21, v21
	v_and_b32_e32 v23, 0xffff0000, v7
	v_and_b32_e32 v7, 0xffff0000, v8
	v_lshlrev_b32_e32 v6, 16, v8
	v_fmac_f32_e32 v1, v22, v22
	v_pk_mul_f32 v[6:7], v[6:7], v[6:7]
	v_fmac_f32_e32 v1, v23, v23
	v_and_b32_e32 v15, 0xffff0000, v9
	v_lshlrev_b32_e32 v14, 16, v9
	v_add_f32_e32 v1, v1, v6
	s_waitcnt vmcnt(0)
	v_and_b32_e32 v9, 0xffff0000, v10
	v_lshlrev_b32_e32 v8, 16, v10
	v_and_b32_e32 v17, 0xffff0000, v11
	v_lshlrev_b32_e32 v16, 16, v11
	;; [unrolled: 2-line block ×4, first 2 shown]
	v_pk_mul_f32 v[12:13], v[14:15], v[14:15]
	v_add_f32_e32 v1, v1, v7
	v_add_f32_e32 v1, v1, v12
	v_pk_mul_f32 v[8:9], v[8:9], v[8:9]
	v_add_f32_e32 v1, v1, v13
	v_add_f32_e32 v1, v1, v8
	;; [unrolled: 3-line block ×5, first 2 shown]
	v_add_f32_e32 v1, v1, v17
	s_andn2_b64 exec, exec, s[14:15]
	s_cbranch_execnz .LBB25_10
; %bb.11:
	s_or_b64 exec, exec, s[14:15]
.LBB25_12:
	s_or_b64 exec, exec, s[12:13]
	v_lshl_add_u32 v2, s17, 4, v0
	v_cmp_gt_i32_e32 vcc, s16, v2
	s_and_saveexec_b64 s[12:13], vcc
	s_cbranch_execz .LBB25_16
; %bb.13:
	s_add_u32 s14, s8, s0
	s_addc_u32 s15, s9, s1
	s_lshl_b64 s[10:11], s[10:11], 1
	s_add_u32 s10, s14, s10
	s_addc_u32 s11, s15, s11
	v_ashrrev_i32_e32 v3, 31, v2
	s_add_u32 s10, s2, s10
	v_lshlrev_b64 v[4:5], 1, v[2:3]
	s_addc_u32 s11, s3, s11
	v_mov_b32_e32 v3, s11
	v_add_co_u32_e32 v4, vcc, s10, v4
	s_mov_b32 s15, 0
	v_addc_co_u32_e32 v5, vcc, v3, v5, vcc
	s_lshl_b32 s14, s37, 1
	s_mov_b64 s[10:11], 0
	v_mov_b32_e32 v3, s15
.LBB25_14:                              ; =>This Inner Loop Header: Depth=1
	global_load_ushort v6, v[4:5], off
	v_add_co_u32_e32 v4, vcc, s14, v4
	v_add_u32_e32 v2, s37, v2
	v_addc_co_u32_e32 v5, vcc, v5, v3, vcc
	v_cmp_le_i32_e32 vcc, s16, v2
	s_or_b64 s[10:11], vcc, s[10:11]
	s_waitcnt vmcnt(0)
	v_lshlrev_b32_e32 v6, 16, v6
	v_fmac_f32_e32 v1, v6, v6
	s_andn2_b64 exec, exec, s[10:11]
	s_cbranch_execnz .LBB25_14
; %bb.15:
	s_or_b64 exec, exec, s[10:11]
.LBB25_16:
	s_or_b64 exec, exec, s[12:13]
	s_branch .LBB25_23
.LBB25_17:
                                        ; implicit-def: $vgpr1
	s_cbranch_execz .LBB25_23
; %bb.18:
	s_ashr_i32 s12, s7, 4
	v_cmp_gt_i32_e32 vcc, s12, v0
	v_mov_b32_e32 v1, 0
	s_and_saveexec_b64 s[10:11], vcc
	s_cbranch_execz .LBB25_22
; %bb.19:
	s_add_u32 s0, s8, s0
	s_addc_u32 s1, s9, s1
	s_add_u32 s0, s2, s0
	v_lshlrev_b32_e32 v1, 5, v0
	s_addc_u32 s1, s3, s1
	s_mov_b32 s8, 0
	v_mov_b32_e32 v3, s1
	v_add_co_u32_e32 v2, vcc, s0, v1
	v_addc_co_u32_e32 v3, vcc, 0, v3, vcc
	s_lshl_b32 s2, s37, 5
	s_mov_b64 s[0:1], 0
	v_mov_b32_e32 v1, 0
	v_mov_b32_e32 v4, s8
	;; [unrolled: 1-line block ×3, first 2 shown]
.LBB25_20:                              ; =>This Inner Loop Header: Depth=1
	global_load_dwordx4 v[6:9], v[2:3], off
	global_load_dwordx4 v[10:13], v[2:3], off offset:16
	v_add_co_u32_e32 v2, vcc, s2, v2
	v_add_u32_e32 v5, s37, v5
	v_addc_co_u32_e32 v3, vcc, v3, v4, vcc
	v_cmp_le_i32_e32 vcc, s12, v5
	s_or_b64 s[0:1], vcc, s[0:1]
	s_waitcnt vmcnt(1)
	v_lshlrev_b32_e32 v20, 16, v6
	v_and_b32_e32 v21, 0xffff0000, v6
	v_fmac_f32_e32 v1, v20, v20
	v_lshlrev_b32_e32 v22, 16, v7
	v_fmac_f32_e32 v1, v21, v21
	v_and_b32_e32 v23, 0xffff0000, v7
	v_and_b32_e32 v7, 0xffff0000, v8
	v_lshlrev_b32_e32 v6, 16, v8
	v_fmac_f32_e32 v1, v22, v22
	v_pk_mul_f32 v[6:7], v[6:7], v[6:7]
	v_fmac_f32_e32 v1, v23, v23
	v_and_b32_e32 v15, 0xffff0000, v9
	v_lshlrev_b32_e32 v14, 16, v9
	v_add_f32_e32 v1, v6, v1
	s_waitcnt vmcnt(0)
	v_and_b32_e32 v9, 0xffff0000, v10
	v_lshlrev_b32_e32 v8, 16, v10
	v_and_b32_e32 v17, 0xffff0000, v11
	v_lshlrev_b32_e32 v16, 16, v11
	v_and_b32_e32 v11, 0xffff0000, v12
	v_lshlrev_b32_e32 v10, 16, v12
	v_and_b32_e32 v19, 0xffff0000, v13
	v_lshlrev_b32_e32 v18, 16, v13
	v_pk_mul_f32 v[12:13], v[14:15], v[14:15]
	v_add_f32_e32 v1, v7, v1
	v_add_f32_e32 v1, v12, v1
	v_pk_mul_f32 v[8:9], v[8:9], v[8:9]
	v_add_f32_e32 v1, v13, v1
	v_add_f32_e32 v1, v8, v1
	;; [unrolled: 3-line block ×5, first 2 shown]
	v_add_f32_e32 v1, v17, v1
	s_andn2_b64 exec, exec, s[0:1]
	s_cbranch_execnz .LBB25_20
; %bb.21:
	s_or_b64 exec, exec, s[0:1]
.LBB25_22:
	s_or_b64 exec, exec, s[10:11]
.LBB25_23:
	v_mbcnt_lo_u32_b32 v2, -1, 0
	v_mbcnt_hi_u32_b32 v2, -1, v2
	v_and_b32_e32 v3, 63, v2
	v_cmp_ne_u32_e32 vcc, 63, v3
	v_addc_co_u32_e32 v4, vcc, 0, v2, vcc
	v_lshlrev_b32_e32 v4, 2, v4
	ds_bpermute_b32 v4, v4, v1
	v_and_b32_e32 v5, 0x3c0, v0
	v_sub_u32_e64 v5, s37, v5 clamp
	v_add_u32_e32 v6, 1, v2
	v_cmp_lt_u32_e32 vcc, v6, v5
	s_waitcnt lgkmcnt(0)
	v_add_f32_e32 v4, v1, v4
	v_cndmask_b32_e32 v1, v1, v4, vcc
	v_cmp_gt_u32_e32 vcc, 62, v3
	v_cndmask_b32_e64 v4, 0, 1, vcc
	v_lshlrev_b32_e32 v4, 1, v4
	v_add_lshl_u32 v4, v4, v2, 2
	ds_bpermute_b32 v4, v4, v1
	v_add_u32_e32 v6, 2, v2
	v_cmp_lt_u32_e32 vcc, v6, v5
	v_add_u32_e32 v6, 4, v2
	s_waitcnt lgkmcnt(0)
	v_add_f32_e32 v4, v1, v4
	v_cndmask_b32_e32 v1, v1, v4, vcc
	v_cmp_gt_u32_e32 vcc, 60, v3
	v_cndmask_b32_e64 v4, 0, 1, vcc
	v_lshlrev_b32_e32 v4, 2, v4
	v_add_lshl_u32 v4, v4, v2, 2
	ds_bpermute_b32 v4, v4, v1
	v_cmp_lt_u32_e32 vcc, v6, v5
	v_add_u32_e32 v6, 8, v2
	s_waitcnt lgkmcnt(0)
	v_add_f32_e32 v4, v1, v4
	v_cndmask_b32_e32 v1, v1, v4, vcc
	v_cmp_gt_u32_e32 vcc, 56, v3
	v_cndmask_b32_e64 v4, 0, 1, vcc
	v_lshlrev_b32_e32 v4, 3, v4
	v_add_lshl_u32 v4, v4, v2, 2
	ds_bpermute_b32 v4, v4, v1
	;; [unrolled: 10-line block ×3, first 2 shown]
	v_cmp_lt_u32_e32 vcc, v6, v5
	s_waitcnt lgkmcnt(0)
	v_add_f32_e32 v4, v1, v4
	v_cndmask_b32_e32 v1, v1, v4, vcc
	v_cmp_gt_u32_e32 vcc, 32, v3
	v_cndmask_b32_e64 v3, 0, 1, vcc
	v_lshlrev_b32_e32 v3, 5, v3
	v_add_lshl_u32 v3, v3, v2, 2
	ds_bpermute_b32 v3, v3, v1
	v_add_u32_e32 v4, 32, v2
	v_cmp_lt_u32_e32 vcc, v4, v5
	s_waitcnt lgkmcnt(0)
	v_add_f32_e32 v3, v1, v3
	v_cndmask_b32_e32 v1, v1, v3, vcc
	v_cmp_eq_u32_e32 vcc, 0, v2
	s_and_saveexec_b64 s[0:1], vcc
	s_cbranch_execz .LBB25_25
; %bb.24:
	v_lshrrev_b32_e32 v3, 4, v0
	v_and_b32_e32 v3, 60, v3
	ds_write_b32 v3, v1
.LBB25_25:
	s_or_b64 exec, exec, s[0:1]
	v_cmp_gt_u32_e32 vcc, 16, v0
	s_waitcnt lgkmcnt(0)
	s_barrier
	s_and_saveexec_b64 s[2:3], vcc
	s_cbranch_execz .LBB25_27
; %bb.26:
	v_lshlrev_b32_e32 v1, 2, v2
	ds_read_b32 v1, v1
	v_and_b32_e32 v3, 15, v2
	v_cmp_ne_u32_e32 vcc, 15, v3
	v_addc_co_u32_e32 v4, vcc, 0, v2, vcc
	v_lshlrev_b32_e32 v4, 2, v4
	s_waitcnt lgkmcnt(0)
	ds_bpermute_b32 v4, v4, v1
	s_add_i32 s0, s37, 63
	s_lshr_b32 s8, s0, 6
	v_add_u32_e32 v5, 1, v3
	v_cmp_gt_u32_e64 s[0:1], 14, v3
	v_cmp_gt_u32_e32 vcc, s8, v5
	v_cndmask_b32_e64 v5, 0, 1, s[0:1]
	s_waitcnt lgkmcnt(0)
	v_add_f32_e32 v4, v1, v4
	v_lshlrev_b32_e32 v5, 1, v5
	v_cndmask_b32_e32 v4, v1, v4, vcc
	v_add_lshl_u32 v5, v5, v2, 2
	ds_bpermute_b32 v5, v5, v4
	v_add_u32_e32 v6, 2, v3
	v_cmp_gt_u32_e64 s[0:1], s8, v6
	v_add_u32_e32 v6, 4, v3
	s_waitcnt lgkmcnt(0)
	v_add_f32_e32 v5, v4, v5
	v_cndmask_b32_e64 v4, v4, v5, s[0:1]
	v_cmp_gt_u32_e64 s[0:1], 12, v3
	v_cndmask_b32_e64 v5, 0, 1, s[0:1]
	v_lshlrev_b32_e32 v5, 2, v5
	v_add_lshl_u32 v5, v5, v2, 2
	ds_bpermute_b32 v5, v5, v4
	v_cmp_gt_u32_e64 s[0:1], s8, v6
	s_waitcnt lgkmcnt(0)
	v_add_f32_e32 v5, v4, v5
	v_cndmask_b32_e64 v4, v4, v5, s[0:1]
	v_cmp_gt_u32_e64 s[0:1], 8, v3
	v_cndmask_b32_e64 v5, 0, 1, s[0:1]
	v_lshlrev_b32_e32 v5, 3, v5
	v_add_lshl_u32 v2, v5, v2, 2
	ds_bpermute_b32 v2, v2, v4
	v_add_u32_e32 v3, 8, v3
	v_cmp_gt_u32_e64 s[0:1], s8, v3
	s_waitcnt lgkmcnt(0)
	v_add_f32_e32 v2, v4, v2
	v_cndmask_b32_e64 v2, v4, v2, s[0:1]
	v_cndmask_b32_e32 v1, v1, v2, vcc
.LBB25_27:
	s_or_b64 exec, exec, s[2:3]
	v_cmp_eq_u32_e32 vcc, 0, v0
	s_and_saveexec_b64 s[0:1], vcc
	s_cbranch_execz .LBB25_29
; %bb.28:
	v_cvt_f32_i32_e32 v2, s7
	s_load_dword s8, s[4:5], 0x40
	v_div_scale_f32 v3, s[2:3], v2, v2, v1
	v_rcp_f32_e32 v4, v3
	v_div_scale_f32 v5, vcc, v1, v2, v1
	s_mov_b32 s2, 0x800000
	v_fma_f32 v6, -v3, v4, 1.0
	v_fmac_f32_e32 v4, v6, v4
	v_mul_f32_e32 v6, v5, v4
	v_fma_f32 v7, -v3, v6, v5
	v_fmac_f32_e32 v6, v7, v4
	v_fma_f32 v3, -v3, v6, v5
	v_div_fmas_f32 v3, v3, v4, v6
	v_div_fixup_f32 v1, v3, v2, v1
	s_waitcnt lgkmcnt(0)
	v_add_f32_e32 v1, s8, v1
	v_mul_f32_e32 v2, 0x4b800000, v1
	v_cmp_gt_f32_e32 vcc, s2, v1
	v_cndmask_b32_e32 v1, v1, v2, vcc
	v_rsq_f32_e32 v1, v1
	v_mul_f32_e32 v2, 0x45800000, v1
	v_cndmask_b32_e32 v1, v1, v2, vcc
	v_mov_b32_e32 v2, 0
	ds_write_b32 v2, v1 offset:64
.LBB25_29:
	s_or_b64 exec, exec, s[0:1]
	s_ashr_i32 s0, s7, 31
	s_lshr_b32 s0, s0, 28
	s_add_i32 s0, s7, s0
	s_ashr_i32 s38, s0, 4
	v_cmp_gt_i32_e32 vcc, s38, v0
	s_waitcnt lgkmcnt(0)
	s_barrier
	s_and_saveexec_b64 s[0:1], vcc
	s_cbranch_execz .LBB25_37
; %bb.30:
	v_cvt_f32_u32_e32 v1, s37
	s_load_dwordx2 s[0:1], s[4:5], 0x0
	s_load_dwordx2 s[30:31], s[4:5], 0x38
	s_mul_i32 s2, s6, s7
	s_mov_b32 s3, 0
	v_rcp_iflag_f32_e32 v1, v1
	s_lshl_b64 s[2:3], s[2:3], 1
	v_add_u32_e32 v2, s37, v0
	s_waitcnt lgkmcnt(0)
	s_add_u32 s39, s0, s2
	v_mul_f32_e32 v1, 0x4f7ffffe, v1
	v_cvt_u32_f32_e32 v1, v1
	v_mov_b32_e32 v4, s37
	v_cmp_gt_i32_e32 vcc, s38, v2
	s_addc_u32 s40, s1, s3
	v_max_i32_e32 v3, s38, v2
	v_addc_co_u32_e64 v2, s[0:1], v0, v4, vcc
	s_sub_i32 s0, 0, s37
	v_sub_u32_e32 v2, v3, v2
	v_mul_lo_u32 v3, s0, v1
	v_mul_hi_u32 v3, v1, v3
	v_add_u32_e32 v1, v1, v3
	v_mul_hi_u32 v1, v2, v1
	v_mul_lo_u32 v3, v1, s37
	v_sub_u32_e32 v2, v2, v3
	v_add_u32_e32 v3, 1, v1
	v_cmp_le_u32_e64 s[0:1], s37, v2
	v_cndmask_b32_e64 v1, v1, v3, s[0:1]
	v_subrev_u32_e32 v3, s37, v2
	v_mov_b32_e32 v37, 0
	v_cndmask_b32_e64 v2, v2, v3, s[0:1]
	ds_read_b32 v34, v37 offset:64
	v_add_u32_e32 v3, 1, v1
	v_cmp_le_u32_e64 s[0:1], s37, v2
	v_cndmask_b32_e64 v1, v1, v3, s[0:1]
	v_addc_co_u32_e32 v44, vcc, 1, v1, vcc
	s_cmp_eq_u32 s37, 1
	v_cmp_lt_u32_e32 vcc, 1, v44
	s_cselect_b64 s[0:1], -1, 0
	s_and_b64 s[4:5], vcc, s[0:1]
	s_mov_b64 s[2:3], -1
	s_and_saveexec_b64 s[0:1], s[4:5]
	s_cbranch_execz .LBB25_34
; %bb.31:
	v_and_b32_e32 v45, -2, v44
	v_add_u32_e32 v1, 1, v0
	s_waitcnt lgkmcnt(0)
	v_mov_b32_e32 v35, v34
	s_mov_b64 s[2:3], 0
	v_mov_b32_e32 v46, s36
	v_mov_b32_e32 v47, s31
	s_movk_i32 s4, 0x7fff
	v_mov_b32_e32 v48, 0x7fc00000
	v_mov_b32_e32 v49, 0x7fc0
	;; [unrolled: 1-line block ×3, first 2 shown]
	s_mov_b32 s5, 0x5040100
	v_mov_b32_e32 v51, v45
	v_pk_mov_b32 v[38:39], v[0:1], v[0:1] op_sel:[0,1]
.LBB25_32:                              ; =>This Inner Loop Header: Depth=1
	v_mov_b32_e32 v36, v38
	v_lshlrev_b64 v[40:41], 5, v[36:37]
	v_add_co_u32_e32 v2, vcc, s33, v40
	v_mov_b32_e32 v36, v39
	v_addc_co_u32_e32 v3, vcc, v46, v41, vcc
	v_lshlrev_b64 v[42:43], 5, v[36:37]
	v_add_co_u32_e32 v4, vcc, s33, v42
	v_addc_co_u32_e32 v5, vcc, v46, v43, vcc
	global_load_dwordx4 v[22:25], v[2:3], off
	global_load_dwordx4 v[30:33], v[4:5], off
	global_load_dwordx4 v[6:9], v[2:3], off offset:16
	global_load_dwordx4 v[14:17], v[4:5], off offset:16
	v_add_co_u32_e32 v52, vcc, s30, v40
	v_addc_co_u32_e32 v53, vcc, v47, v41, vcc
	v_add_co_u32_e32 v54, vcc, s30, v42
	v_addc_co_u32_e32 v55, vcc, v47, v43, vcc
	global_load_dwordx4 v[18:21], v[52:53], off
	global_load_dwordx4 v[26:29], v[54:55], off
	global_load_dwordx4 v[2:5], v[52:53], off offset:16
	global_load_dwordx4 v[10:13], v[54:55], off offset:16
	v_add_u32_e32 v51, -2, v51
	v_add_u32_e32 v39, 2, v39
	v_add_u32_e32 v38, 2, v38
	s_waitcnt vmcnt(7)
	v_lshlrev_b32_e32 v52, 16, v22
	s_waitcnt vmcnt(6)
	v_lshlrev_b32_e32 v53, 16, v30
	v_pk_mul_f32 v[52:53], v[34:35], v[52:53]
	v_bfe_u32 v36, v53, 16, 1
	v_bfe_u32 v1, v52, 16, 1
	v_add3_u32 v36, v53, v36, s4
	v_add3_u32 v1, v52, v1, s4
	v_and_b32_e32 v36, 0xffff0000, v36
	v_cmp_o_f32_e32 vcc, v53, v53
	v_and_b32_e32 v1, 0xffff0000, v1
	v_cndmask_b32_e32 v53, v48, v36, vcc
	v_cmp_o_f32_e32 vcc, v52, v52
	v_cndmask_b32_e32 v52, v48, v1, vcc
	s_waitcnt vmcnt(2)
	v_lshlrev_b32_e32 v55, 16, v26
	v_lshlrev_b32_e32 v54, 16, v18
	v_pk_mul_f32 v[52:53], v[52:53], v[54:55]
	v_bfe_u32 v1, v53, 16, 1
	v_add3_u32 v1, v53, v1, s4
	v_bfe_u32 v36, v52, 16, 1
	v_lshrrev_b32_e32 v1, 16, v1
	v_cmp_o_f32_e32 vcc, v53, v53
	v_add3_u32 v36, v52, v36, s4
	v_cndmask_b32_e32 v1, v49, v1, vcc
	v_cmp_o_f32_e32 vcc, v52, v52
	v_and_b32_e32 v53, 0xffff0000, v30
	v_and_b32_e32 v52, 0xffff0000, v22
	v_pk_mul_f32 v[52:53], v[34:35], v[52:53]
	v_bfe_u32 v30, v53, 16, 1
	v_lshrrev_b32_e32 v36, 16, v36
	v_bfe_u32 v22, v52, 16, 1
	v_add3_u32 v30, v53, v30, s4
	v_cndmask_b32_e32 v36, v49, v36, vcc
	v_add3_u32 v22, v52, v22, s4
	v_and_b32_e32 v30, 0xffff0000, v30
	v_cmp_o_f32_e32 vcc, v53, v53
	v_and_b32_e32 v22, 0xffff0000, v22
	v_cndmask_b32_e32 v53, v48, v30, vcc
	v_cmp_o_f32_e32 vcc, v52, v52
	v_cndmask_b32_e32 v52, v48, v22, vcc
	v_and_b32_e32 v55, 0xffff0000, v26
	v_and_b32_e32 v54, 0xffff0000, v18
	v_pk_mul_f32 v[52:53], v[52:53], v[54:55]
	v_bfe_u32 v18, v53, 16, 1
	v_add3_u32 v18, v53, v18, s4
	v_bfe_u32 v22, v52, 16, 1
	v_lshrrev_b32_e32 v18, 16, v18
	v_cmp_o_f32_e32 vcc, v53, v53
	v_add3_u32 v22, v52, v22, s4
	v_cndmask_b32_e32 v18, v49, v18, vcc
	v_cmp_o_f32_e32 vcc, v52, v52
	v_lshlrev_b32_e32 v53, 16, v31
	v_lshlrev_b32_e32 v52, 16, v23
	v_pk_mul_f32 v[52:53], v[34:35], v[52:53]
	v_bfe_u32 v30, v53, 16, 1
	v_lshrrev_b32_e32 v22, 16, v22
	v_bfe_u32 v26, v52, 16, 1
	v_add3_u32 v30, v53, v30, s4
	v_cndmask_b32_e32 v22, v49, v22, vcc
	v_add3_u32 v26, v52, v26, s4
	v_and_b32_e32 v30, 0xffff0000, v30
	v_cmp_o_f32_e32 vcc, v53, v53
	v_and_b32_e32 v26, 0xffff0000, v26
	v_cndmask_b32_e32 v53, v48, v30, vcc
	v_cmp_o_f32_e32 vcc, v52, v52
	v_cndmask_b32_e32 v52, v48, v26, vcc
	v_lshlrev_b32_e32 v55, 16, v27
	v_lshlrev_b32_e32 v54, 16, v19
	v_pk_mul_f32 v[52:53], v[52:53], v[54:55]
	v_bfe_u32 v26, v53, 16, 1
	v_add3_u32 v26, v53, v26, s4
	v_bfe_u32 v30, v52, 16, 1
	v_lshrrev_b32_e32 v26, 16, v26
	v_cmp_o_f32_e32 vcc, v53, v53
	v_add3_u32 v30, v52, v30, s4
	v_cndmask_b32_e32 v26, v49, v26, vcc
	v_cmp_o_f32_e32 vcc, v52, v52
	v_and_b32_e32 v53, 0xffff0000, v31
	v_and_b32_e32 v52, 0xffff0000, v23
	v_pk_mul_f32 v[52:53], v[34:35], v[52:53]
	v_bfe_u32 v31, v53, 16, 1
	v_lshrrev_b32_e32 v30, 16, v30
	v_bfe_u32 v23, v52, 16, 1
	v_add3_u32 v31, v53, v31, s4
	v_cndmask_b32_e32 v30, v49, v30, vcc
	v_add3_u32 v23, v52, v23, s4
	v_and_b32_e32 v31, 0xffff0000, v31
	v_cmp_o_f32_e32 vcc, v53, v53
	v_and_b32_e32 v23, 0xffff0000, v23
	v_cndmask_b32_e32 v53, v48, v31, vcc
	v_cmp_o_f32_e32 vcc, v52, v52
	v_cndmask_b32_e32 v52, v48, v23, vcc
	v_and_b32_e32 v55, 0xffff0000, v27
	v_and_b32_e32 v54, 0xffff0000, v19
	v_pk_mul_f32 v[52:53], v[52:53], v[54:55]
	v_bfe_u32 v19, v53, 16, 1
	v_add3_u32 v19, v53, v19, s4
	v_bfe_u32 v23, v52, 16, 1
	v_lshrrev_b32_e32 v19, 16, v19
	v_cmp_o_f32_e32 vcc, v53, v53
	v_add3_u32 v23, v52, v23, s4
	v_cndmask_b32_e32 v19, v49, v19, vcc
	v_cmp_o_f32_e32 vcc, v52, v52
	v_lshlrev_b32_e32 v53, 16, v32
	v_lshlrev_b32_e32 v52, 16, v24
	v_pk_mul_f32 v[52:53], v[34:35], v[52:53]
	v_bfe_u32 v31, v53, 16, 1
	v_lshrrev_b32_e32 v23, 16, v23
	v_bfe_u32 v27, v52, 16, 1
	v_add3_u32 v31, v53, v31, s4
	v_cndmask_b32_e32 v23, v49, v23, vcc
	v_add3_u32 v27, v52, v27, s4
	v_and_b32_e32 v31, 0xffff0000, v31
	v_cmp_o_f32_e32 vcc, v53, v53
	v_and_b32_e32 v27, 0xffff0000, v27
	v_cndmask_b32_e32 v53, v48, v31, vcc
	v_cmp_o_f32_e32 vcc, v52, v52
	v_cndmask_b32_e32 v52, v48, v27, vcc
	;; [unrolled: 52-line block ×4, first 2 shown]
	s_waitcnt vmcnt(0)
	v_lshlrev_b32_e32 v55, 16, v10
	v_lshlrev_b32_e32 v54, 16, v2
	v_pk_mul_f32 v[52:53], v[52:53], v[54:55]
	v_bfe_u32 v29, v53, 16, 1
	v_add3_u32 v29, v53, v29, s4
	v_bfe_u32 v33, v52, 16, 1
	v_lshrrev_b32_e32 v29, 16, v29
	v_cmp_o_f32_e32 vcc, v53, v53
	v_add3_u32 v33, v52, v33, s4
	v_cndmask_b32_e32 v29, v49, v29, vcc
	v_cmp_o_f32_e32 vcc, v52, v52
	v_and_b32_e32 v53, 0xffff0000, v14
	v_and_b32_e32 v52, 0xffff0000, v6
	v_pk_mul_f32 v[52:53], v[34:35], v[52:53]
	v_bfe_u32 v14, v53, 16, 1
	v_lshrrev_b32_e32 v33, 16, v33
	v_bfe_u32 v6, v52, 16, 1
	v_add3_u32 v14, v53, v14, s4
	v_cndmask_b32_e32 v33, v49, v33, vcc
	v_add3_u32 v6, v52, v6, s4
	v_and_b32_e32 v14, 0xffff0000, v14
	v_cmp_o_f32_e32 vcc, v53, v53
	v_and_b32_e32 v6, 0xffff0000, v6
	v_cndmask_b32_e32 v53, v48, v14, vcc
	v_cmp_o_f32_e32 vcc, v52, v52
	v_cndmask_b32_e32 v52, v48, v6, vcc
	v_and_b32_e32 v55, 0xffff0000, v10
	v_and_b32_e32 v54, 0xffff0000, v2
	v_pk_mul_f32 v[52:53], v[52:53], v[54:55]
	v_bfe_u32 v2, v53, 16, 1
	v_add3_u32 v2, v53, v2, s4
	v_bfe_u32 v6, v52, 16, 1
	v_lshrrev_b32_e32 v2, 16, v2
	v_cmp_o_f32_e32 vcc, v53, v53
	v_add3_u32 v6, v52, v6, s4
	v_cndmask_b32_e32 v2, v49, v2, vcc
	v_cmp_o_f32_e32 vcc, v52, v52
	v_lshlrev_b32_e32 v53, 16, v15
	v_lshlrev_b32_e32 v52, 16, v7
	v_pk_mul_f32 v[52:53], v[34:35], v[52:53]
	v_bfe_u32 v14, v53, 16, 1
	v_lshrrev_b32_e32 v6, 16, v6
	v_bfe_u32 v10, v52, 16, 1
	v_add3_u32 v14, v53, v14, s4
	v_cndmask_b32_e32 v6, v49, v6, vcc
	v_add3_u32 v10, v52, v10, s4
	v_and_b32_e32 v14, 0xffff0000, v14
	v_cmp_o_f32_e32 vcc, v53, v53
	v_and_b32_e32 v10, 0xffff0000, v10
	v_cndmask_b32_e32 v53, v48, v14, vcc
	v_cmp_o_f32_e32 vcc, v52, v52
	v_cndmask_b32_e32 v52, v48, v10, vcc
	v_lshlrev_b32_e32 v55, 16, v11
	v_lshlrev_b32_e32 v54, 16, v3
	v_pk_mul_f32 v[52:53], v[52:53], v[54:55]
	v_bfe_u32 v10, v53, 16, 1
	v_add3_u32 v10, v53, v10, s4
	v_bfe_u32 v14, v52, 16, 1
	v_lshrrev_b32_e32 v10, 16, v10
	v_cmp_o_f32_e32 vcc, v53, v53
	v_add3_u32 v14, v52, v14, s4
	v_cndmask_b32_e32 v10, v49, v10, vcc
	v_cmp_o_f32_e32 vcc, v52, v52
	v_and_b32_e32 v53, 0xffff0000, v15
	v_and_b32_e32 v52, 0xffff0000, v7
	v_pk_mul_f32 v[52:53], v[34:35], v[52:53]
	v_bfe_u32 v15, v53, 16, 1
	v_lshrrev_b32_e32 v14, 16, v14
	v_bfe_u32 v7, v52, 16, 1
	v_add3_u32 v15, v53, v15, s4
	v_cndmask_b32_e32 v14, v49, v14, vcc
	v_add3_u32 v7, v52, v7, s4
	v_and_b32_e32 v15, 0xffff0000, v15
	v_cmp_o_f32_e32 vcc, v53, v53
	v_and_b32_e32 v7, 0xffff0000, v7
	v_cndmask_b32_e32 v53, v48, v15, vcc
	v_cmp_o_f32_e32 vcc, v52, v52
	v_cndmask_b32_e32 v52, v48, v7, vcc
	v_and_b32_e32 v55, 0xffff0000, v11
	v_and_b32_e32 v54, 0xffff0000, v3
	v_pk_mul_f32 v[52:53], v[52:53], v[54:55]
	v_bfe_u32 v3, v53, 16, 1
	v_add3_u32 v3, v53, v3, s4
	v_bfe_u32 v7, v52, 16, 1
	v_lshrrev_b32_e32 v3, 16, v3
	v_cmp_o_f32_e32 vcc, v53, v53
	v_add3_u32 v7, v52, v7, s4
	v_cndmask_b32_e32 v3, v49, v3, vcc
	v_cmp_o_f32_e32 vcc, v52, v52
	v_lshlrev_b32_e32 v53, 16, v16
	v_lshlrev_b32_e32 v52, 16, v8
	v_pk_mul_f32 v[52:53], v[34:35], v[52:53]
	v_bfe_u32 v15, v53, 16, 1
	v_lshrrev_b32_e32 v7, 16, v7
	v_bfe_u32 v11, v52, 16, 1
	v_add3_u32 v15, v53, v15, s4
	v_cndmask_b32_e32 v7, v49, v7, vcc
	v_add3_u32 v11, v52, v11, s4
	v_and_b32_e32 v15, 0xffff0000, v15
	v_cmp_o_f32_e32 vcc, v53, v53
	v_and_b32_e32 v11, 0xffff0000, v11
	v_cndmask_b32_e32 v53, v48, v15, vcc
	v_cmp_o_f32_e32 vcc, v52, v52
	v_cndmask_b32_e32 v52, v48, v11, vcc
	v_lshlrev_b32_e32 v55, 16, v12
	v_lshlrev_b32_e32 v54, 16, v4
	v_pk_mul_f32 v[52:53], v[52:53], v[54:55]
	v_bfe_u32 v11, v53, 16, 1
	v_add3_u32 v11, v53, v11, s4
	v_bfe_u32 v15, v52, 16, 1
	v_lshrrev_b32_e32 v11, 16, v11
	v_cmp_o_f32_e32 vcc, v53, v53
	v_add3_u32 v15, v52, v15, s4
	v_cndmask_b32_e32 v11, v49, v11, vcc
	v_cmp_o_f32_e32 vcc, v52, v52
	v_and_b32_e32 v53, 0xffff0000, v16
	v_and_b32_e32 v52, 0xffff0000, v8
	v_pk_mul_f32 v[52:53], v[34:35], v[52:53]
	v_bfe_u32 v16, v53, 16, 1
	v_lshrrev_b32_e32 v15, 16, v15
	v_bfe_u32 v8, v52, 16, 1
	v_add3_u32 v16, v53, v16, s4
	v_cndmask_b32_e32 v15, v49, v15, vcc
	v_add3_u32 v8, v52, v8, s4
	v_and_b32_e32 v16, 0xffff0000, v16
	v_cmp_o_f32_e32 vcc, v53, v53
	v_and_b32_e32 v8, 0xffff0000, v8
	v_cndmask_b32_e32 v53, v48, v16, vcc
	v_cmp_o_f32_e32 vcc, v52, v52
	v_cndmask_b32_e32 v52, v48, v8, vcc
	v_and_b32_e32 v55, 0xffff0000, v12
	v_and_b32_e32 v54, 0xffff0000, v4
	v_pk_mul_f32 v[52:53], v[52:53], v[54:55]
	v_bfe_u32 v4, v53, 16, 1
	v_add3_u32 v4, v53, v4, s4
	v_bfe_u32 v8, v52, 16, 1
	v_lshrrev_b32_e32 v4, 16, v4
	v_cmp_o_f32_e32 vcc, v53, v53
	v_add3_u32 v8, v52, v8, s4
	v_cndmask_b32_e32 v56, v49, v4, vcc
	v_cmp_o_f32_e32 vcc, v52, v52
	v_lshlrev_b32_e32 v53, 16, v17
	v_lshlrev_b32_e32 v52, 16, v9
	v_lshrrev_b32_e32 v8, 16, v8
	v_pk_mul_f32 v[52:53], v[34:35], v[52:53]
	v_cndmask_b32_e32 v57, v49, v8, vcc
	v_bfe_u32 v8, v53, 16, 1
	v_bfe_u32 v4, v52, 16, 1
	v_add3_u32 v8, v53, v8, s4
	v_add3_u32 v4, v52, v4, s4
	v_and_b32_e32 v8, 0xffff0000, v8
	v_cmp_o_f32_e32 vcc, v53, v53
	v_and_b32_e32 v4, 0xffff0000, v4
	v_cndmask_b32_e32 v53, v48, v8, vcc
	v_cmp_o_f32_e32 vcc, v52, v52
	v_cndmask_b32_e32 v52, v48, v4, vcc
	v_lshlrev_b32_e32 v55, 16, v13
	v_lshlrev_b32_e32 v54, 16, v5
	v_pk_mul_f32 v[52:53], v[52:53], v[54:55]
	v_bfe_u32 v4, v53, 16, 1
	v_bfe_u32 v8, v52, 16, 1
	v_add3_u32 v4, v53, v4, s4
	v_add3_u32 v8, v52, v8, s4
	v_lshrrev_b32_e32 v4, 16, v4
	v_cmp_o_f32_e32 vcc, v53, v53
	v_lshrrev_b32_e32 v8, 16, v8
	v_cndmask_b32_e32 v53, v49, v4, vcc
	v_cmp_o_f32_e32 vcc, v52, v52
	v_and_b32_e32 v17, 0xffff0000, v17
	v_and_b32_e32 v16, 0xffff0000, v9
	v_cndmask_b32_e32 v52, v49, v8, vcc
	v_pk_mul_f32 v[8:9], v[34:35], v[16:17]
	v_bfe_u32 v12, v9, 16, 1
	v_bfe_u32 v4, v8, 16, 1
	v_add3_u32 v12, v9, v12, s4
	v_add3_u32 v4, v8, v4, s4
	v_and_b32_e32 v12, 0xffff0000, v12
	v_cmp_o_f32_e32 vcc, v9, v9
	v_and_b32_e32 v4, 0xffff0000, v4
	v_cndmask_b32_e32 v9, v48, v12, vcc
	v_cmp_o_f32_e32 vcc, v8, v8
	v_cndmask_b32_e32 v8, v48, v4, vcc
	v_and_b32_e32 v13, 0xffff0000, v13
	v_and_b32_e32 v12, 0xffff0000, v5
	v_pk_mul_f32 v[4:5], v[8:9], v[12:13]
	v_bfe_u32 v8, v5, 16, 1
	v_bfe_u32 v9, v4, 16, 1
	v_add3_u32 v8, v5, v8, s4
	v_add3_u32 v9, v4, v9, s4
	v_lshrrev_b32_e32 v8, 16, v8
	v_cmp_o_f32_e32 vcc, v5, v5
	v_lshrrev_b32_e32 v9, 16, v9
	v_cndmask_b32_e32 v16, v49, v8, vcc
	v_cmp_o_f32_e32 vcc, v4, v4
	v_cndmask_b32_e32 v17, v49, v9, vcc
	v_add_co_u32_e32 v8, vcc, s39, v40
	v_addc_co_u32_e32 v9, vcc, v50, v41, vcc
	v_add_co_u32_e32 v12, vcc, s39, v42
	v_addc_co_u32_e32 v13, vcc, v50, v43, vcc
	v_perm_b32 v5, v7, v14, s5
	v_perm_b32 v4, v6, v33, s5
	;; [unrolled: 1-line block ×4, first 2 shown]
	v_cmp_eq_u32_e32 vcc, 0, v51
	v_perm_b32 v23, v23, v30, s5
	v_perm_b32 v22, v22, v36, s5
	;; [unrolled: 1-line block ×8, first 2 shown]
	global_store_dwordx4 v[8:9], v[4:7], off offset:16
	v_perm_b32 v3, v3, v10, s5
	v_perm_b32 v5, v16, v53, s5
	v_perm_b32 v4, v56, v11, s5
	v_perm_b32 v2, v2, v29, s5
	s_or_b64 s[2:3], vcc, s[2:3]
	global_store_dwordx4 v[8:9], v[22:25], off
	global_store_dwordx4 v[12:13], v[18:21], off
	global_store_dwordx4 v[12:13], v[2:5], off offset:16
	s_andn2_b64 exec, exec, s[2:3]
	s_cbranch_execnz .LBB25_32
; %bb.33:
	s_or_b64 exec, exec, s[2:3]
	v_cmp_ne_u32_e32 vcc, v44, v45
	v_add_u32_e32 v0, v0, v45
	s_orn2_b64 s[2:3], vcc, exec
.LBB25_34:
	s_or_b64 exec, exec, s[0:1]
	s_and_b64 exec, exec, s[2:3]
	s_cbranch_execz .LBB25_37
; %bb.35:
	v_mov_b32_e32 v1, 0
	s_waitcnt lgkmcnt(0)
	v_mov_b32_e32 v35, v34
	v_lshlrev_b64 v[2:3], 5, v[0:1]
	s_lshl_b32 s41, s37, 5
	s_mov_b64 s[34:35], 0
	v_mov_b32_e32 v4, v34
	v_mov_b32_e32 v5, v34
	s_movk_i32 s42, 0x7fff
	v_mov_b32_e32 v1, 0x7fc00000
	v_mov_b32_e32 v10, 0x7fc0
	s_mov_b32 s43, 0x5040100
.LBB25_36:                              ; =>This Inner Loop Header: Depth=1
	v_mov_b32_e32 v7, s36
	v_add_co_u32_e64 v28, s[2:3], s33, v2
	v_mov_b32_e32 v9, s31
	v_add_co_u32_e32 v8, vcc, s30, v2
	v_addc_co_u32_e64 v29, s[2:3], v7, v3, s[2:3]
	v_addc_co_u32_e32 v9, vcc, v9, v3, vcc
	global_load_dwordx4 v[12:15], v[28:29], off
	global_load_dwordx4 v[16:19], v[8:9], off
	global_load_dwordx4 v[20:23], v[28:29], off offset:16
	global_load_dwordx4 v[24:27], v[8:9], off offset:16
	v_add_co_u32_e64 v6, s[0:1], s39, v2
	s_add_u32 s39, s39, s41
	v_mov_b32_e32 v11, s40
	s_addc_u32 s40, s40, 0
	s_add_u32 s33, s33, s41
	s_addc_u32 s36, s36, 0
	v_add_u32_e32 v0, s37, v0
	v_addc_co_u32_e64 v7, vcc, v11, v3, s[0:1]
	s_add_u32 s30, s30, s41
	v_cmp_le_i32_e32 vcc, s38, v0
	s_addc_u32 s31, s31, 0
	s_or_b64 s[34:35], vcc, s[34:35]
	s_waitcnt vmcnt(3)
	v_and_b32_e32 v9, 0xffff0000, v13
	v_lshlrev_b32_e32 v8, 16, v13
	v_and_b32_e32 v13, 0xffff0000, v12
	v_lshlrev_b32_e32 v12, 16, v12
	;; [unrolled: 2-line block ×4, first 2 shown]
	s_waitcnt vmcnt(1)
	v_and_b32_e32 v37, 0xffff0000, v21
	v_lshlrev_b32_e32 v36, 16, v21
	v_and_b32_e32 v21, 0xffff0000, v20
	v_lshlrev_b32_e32 v20, 16, v20
	v_and_b32_e32 v41, 0xffff0000, v23
	v_lshlrev_b32_e32 v40, 16, v23
	v_and_b32_e32 v23, 0xffff0000, v22
	v_lshlrev_b32_e32 v22, 16, v22
	v_pk_mul_f32 v[12:13], v[34:35], v[12:13]
	v_pk_mul_f32 v[8:9], v[4:5], v[8:9]
	;; [unrolled: 1-line block ×8, first 2 shown]
	v_bfe_u32 v11, v12, 16, 1
	v_bfe_u32 v44, v13, 16, 1
	;; [unrolled: 1-line block ×16, first 2 shown]
	v_add3_u32 v46, v9, v46, s42
	v_add3_u32 v45, v8, v45, s42
	v_add3_u32 v44, v13, v44, s42
	v_add3_u32 v11, v12, v11, s42
	v_add3_u32 v50, v31, v50, s42
	v_add3_u32 v49, v30, v49, s42
	v_add3_u32 v48, v15, v48, s42
	v_add3_u32 v47, v14, v47, s42
	v_add3_u32 v54, v37, v54, s42
	v_add3_u32 v53, v36, v53, s42
	v_add3_u32 v52, v21, v52, s42
	v_add3_u32 v51, v20, v51, s42
	v_add3_u32 v58, v41, v58, s42
	v_add3_u32 v57, v40, v57, s42
	v_add3_u32 v56, v23, v56, s42
	v_add3_u32 v55, v22, v55, s42
	v_and_b32_e32 v11, 0xffff0000, v11
	v_and_b32_e32 v44, 0xffff0000, v44
	v_and_b32_e32 v45, 0xffff0000, v45
	v_and_b32_e32 v46, 0xffff0000, v46
	v_cmp_o_f32_e32 vcc, v8, v8
	v_cmp_o_f32_e64 s[0:1], v13, v13
	v_cmp_o_f32_e64 s[2:3], v12, v12
	v_and_b32_e32 v47, 0xffff0000, v47
	v_and_b32_e32 v48, 0xffff0000, v48
	;; [unrolled: 1-line block ×4, first 2 shown]
	v_cmp_o_f32_e64 s[4:5], v31, v31
	v_cmp_o_f32_e64 s[6:7], v30, v30
	;; [unrolled: 1-line block ×5, first 2 shown]
	v_and_b32_e32 v29, 0xffff0000, v17
	v_lshlrev_b32_e32 v28, 16, v17
	v_and_b32_e32 v17, 0xffff0000, v16
	v_lshlrev_b32_e32 v16, 16, v16
	;; [unrolled: 2-line block ×4, first 2 shown]
	v_and_b32_e32 v30, 0xffff0000, v51
	v_and_b32_e32 v31, 0xffff0000, v52
	;; [unrolled: 1-line block ×4, first 2 shown]
	v_cmp_o_f32_e64 s[12:13], v37, v37
	v_cmp_o_f32_e64 s[14:15], v36, v36
	;; [unrolled: 1-line block ×4, first 2 shown]
	v_and_b32_e32 v53, 0xffff0000, v55
	v_and_b32_e32 v54, 0xffff0000, v56
	;; [unrolled: 1-line block ×4, first 2 shown]
	v_cmp_o_f32_e64 s[20:21], v41, v41
	v_cmp_o_f32_e64 s[22:23], v40, v40
	;; [unrolled: 1-line block ×4, first 2 shown]
	v_cndmask_b32_e64 v9, v1, v46, s[28:29]
	v_cndmask_b32_e32 v8, v1, v45, vcc
	v_cndmask_b32_e64 v13, v1, v44, s[0:1]
	v_cndmask_b32_e64 v12, v1, v11, s[2:3]
	;; [unrolled: 1-line block ×6, first 2 shown]
	s_waitcnt vmcnt(0)
	v_and_b32_e32 v39, 0xffff0000, v25
	v_lshlrev_b32_e32 v38, 16, v25
	v_and_b32_e32 v25, 0xffff0000, v24
	v_lshlrev_b32_e32 v24, 16, v24
	;; [unrolled: 2-line block ×4, first 2 shown]
	v_cndmask_b32_e64 v23, v1, v52, s[12:13]
	v_cndmask_b32_e64 v22, v1, v51, s[14:15]
	;; [unrolled: 1-line block ×8, first 2 shown]
	v_pk_mul_f32 v[12:13], v[12:13], v[16:17]
	v_pk_mul_f32 v[8:9], v[8:9], v[28:29]
	;; [unrolled: 1-line block ×8, first 2 shown]
	v_bfe_u32 v11, v12, 16, 1
	v_bfe_u32 v26, v13, 16, 1
	v_bfe_u32 v27, v8, 16, 1
	v_bfe_u32 v28, v9, 16, 1
	v_bfe_u32 v29, v16, 16, 1
	v_bfe_u32 v30, v17, 16, 1
	v_bfe_u32 v31, v14, 16, 1
	v_bfe_u32 v32, v15, 16, 1
	v_bfe_u32 v33, v18, 16, 1
	v_bfe_u32 v36, v19, 16, 1
	v_bfe_u32 v37, v20, 16, 1
	v_bfe_u32 v38, v21, 16, 1
	v_bfe_u32 v39, v22, 16, 1
	v_bfe_u32 v40, v23, 16, 1
	v_bfe_u32 v41, v24, 16, 1
	v_bfe_u32 v42, v25, 16, 1
	v_add3_u32 v28, v9, v28, s42
	v_add3_u32 v27, v8, v27, s42
	;; [unrolled: 1-line block ×16, first 2 shown]
	v_lshrrev_b32_e32 v11, 16, v11
	v_lshrrev_b32_e32 v26, 16, v26
	;; [unrolled: 1-line block ×4, first 2 shown]
	v_cmp_o_f32_e32 vcc, v13, v13
	v_cmp_o_f32_e64 s[0:1], v8, v8
	v_cmp_o_f32_e64 s[2:3], v9, v9
	v_lshrrev_b32_e32 v8, 16, v29
	v_lshrrev_b32_e32 v9, 16, v30
	v_lshrrev_b32_e32 v13, 16, v31
	v_lshrrev_b32_e32 v29, 16, v32
	v_cmp_o_f32_e64 s[4:5], v16, v16
	v_cmp_o_f32_e64 s[6:7], v17, v17
	;; [unrolled: 1-line block ×5, first 2 shown]
	v_lshrrev_b32_e32 v14, 16, v33
	v_lshrrev_b32_e32 v15, 16, v36
	;; [unrolled: 1-line block ×4, first 2 shown]
	v_cmp_o_f32_e64 s[12:13], v18, v18
	v_cmp_o_f32_e64 s[14:15], v19, v19
	;; [unrolled: 1-line block ×4, first 2 shown]
	v_lshrrev_b32_e32 v18, 16, v39
	v_lshrrev_b32_e32 v19, 16, v40
	;; [unrolled: 1-line block ×4, first 2 shown]
	v_cmp_o_f32_e64 s[20:21], v22, v22
	v_cmp_o_f32_e64 s[22:23], v23, v23
	;; [unrolled: 1-line block ×4, first 2 shown]
	v_cndmask_b32_e64 v11, v10, v11, s[28:29]
	v_cndmask_b32_e32 v12, v10, v26, vcc
	v_cndmask_b32_e64 v22, v10, v27, s[0:1]
	v_cndmask_b32_e64 v23, v10, v28, s[2:3]
	;; [unrolled: 1-line block ×14, first 2 shown]
	v_perm_b32 v15, v24, v13, s43
	v_perm_b32 v14, v9, v8, s43
	;; [unrolled: 1-line block ×8, first 2 shown]
	global_store_dwordx4 v[6:7], v[12:15], off
	global_store_dwordx4 v[6:7], v[16:19], off offset:16
	s_andn2_b64 exec, exec, s[34:35]
	s_cbranch_execnz .LBB25_36
.LBB25_37:
	s_endpgm
.LBB25_38:
                                        ; implicit-def: $sgpr0_sgpr1
	s_branch .LBB25_2
	.section	.rodata,"a",@progbits
	.p2align	6, 0x0
	.amdhsa_kernel _ZN4vllm15rms_norm_kernelIN3c108BFloat16ELi16ELi3EEEvPT_PKS3_lllllS6_fii
		.amdhsa_group_segment_fixed_size 68
		.amdhsa_private_segment_fixed_size 0
		.amdhsa_kernarg_size 336
		.amdhsa_user_sgpr_count 6
		.amdhsa_user_sgpr_private_segment_buffer 1
		.amdhsa_user_sgpr_dispatch_ptr 0
		.amdhsa_user_sgpr_queue_ptr 0
		.amdhsa_user_sgpr_kernarg_segment_ptr 1
		.amdhsa_user_sgpr_dispatch_id 0
		.amdhsa_user_sgpr_flat_scratch_init 0
		.amdhsa_user_sgpr_kernarg_preload_length 0
		.amdhsa_user_sgpr_kernarg_preload_offset 0
		.amdhsa_user_sgpr_private_segment_size 0
		.amdhsa_uses_dynamic_stack 0
		.amdhsa_system_sgpr_private_segment_wavefront_offset 0
		.amdhsa_system_sgpr_workgroup_id_x 1
		.amdhsa_system_sgpr_workgroup_id_y 0
		.amdhsa_system_sgpr_workgroup_id_z 0
		.amdhsa_system_sgpr_workgroup_info 0
		.amdhsa_system_vgpr_workitem_id 0
		.amdhsa_next_free_vgpr 59
		.amdhsa_next_free_sgpr 44
		.amdhsa_accum_offset 60
		.amdhsa_reserve_vcc 1
		.amdhsa_reserve_flat_scratch 0
		.amdhsa_float_round_mode_32 0
		.amdhsa_float_round_mode_16_64 0
		.amdhsa_float_denorm_mode_32 3
		.amdhsa_float_denorm_mode_16_64 3
		.amdhsa_dx10_clamp 1
		.amdhsa_ieee_mode 1
		.amdhsa_fp16_overflow 0
		.amdhsa_tg_split 0
		.amdhsa_exception_fp_ieee_invalid_op 0
		.amdhsa_exception_fp_denorm_src 0
		.amdhsa_exception_fp_ieee_div_zero 0
		.amdhsa_exception_fp_ieee_overflow 0
		.amdhsa_exception_fp_ieee_underflow 0
		.amdhsa_exception_fp_ieee_inexact 0
		.amdhsa_exception_int_div_zero 0
	.end_amdhsa_kernel
	.section	.text._ZN4vllm15rms_norm_kernelIN3c108BFloat16ELi16ELi3EEEvPT_PKS3_lllllS6_fii,"axG",@progbits,_ZN4vllm15rms_norm_kernelIN3c108BFloat16ELi16ELi3EEEvPT_PKS3_lllllS6_fii,comdat
.Lfunc_end25:
	.size	_ZN4vllm15rms_norm_kernelIN3c108BFloat16ELi16ELi3EEEvPT_PKS3_lllllS6_fii, .Lfunc_end25-_ZN4vllm15rms_norm_kernelIN3c108BFloat16ELi16ELi3EEEvPT_PKS3_lllllS6_fii
                                        ; -- End function
	.section	.AMDGPU.csdata,"",@progbits
; Kernel info:
; codeLenInByte = 7704
; NumSgprs: 48
; NumVgprs: 59
; NumAgprs: 0
; TotalNumVgprs: 59
; ScratchSize: 0
; MemoryBound: 0
; FloatMode: 240
; IeeeMode: 1
; LDSByteSize: 68 bytes/workgroup (compile time only)
; SGPRBlocks: 5
; VGPRBlocks: 7
; NumSGPRsForWavesPerEU: 48
; NumVGPRsForWavesPerEU: 59
; AccumOffset: 60
; Occupancy: 8
; WaveLimiterHint : 0
; COMPUTE_PGM_RSRC2:SCRATCH_EN: 0
; COMPUTE_PGM_RSRC2:USER_SGPR: 6
; COMPUTE_PGM_RSRC2:TRAP_HANDLER: 0
; COMPUTE_PGM_RSRC2:TGID_X_EN: 1
; COMPUTE_PGM_RSRC2:TGID_Y_EN: 0
; COMPUTE_PGM_RSRC2:TGID_Z_EN: 0
; COMPUTE_PGM_RSRC2:TIDIG_COMP_CNT: 0
; COMPUTE_PGM_RSRC3_GFX90A:ACCUM_OFFSET: 14
; COMPUTE_PGM_RSRC3_GFX90A:TG_SPLIT: 0
	.section	.text._ZN4vllm15rms_norm_kernelIN3c108BFloat16ELi8ELi3EEEvPT_PKS3_lllllS6_fii,"axG",@progbits,_ZN4vllm15rms_norm_kernelIN3c108BFloat16ELi8ELi3EEEvPT_PKS3_lllllS6_fii,comdat
	.protected	_ZN4vllm15rms_norm_kernelIN3c108BFloat16ELi8ELi3EEEvPT_PKS3_lllllS6_fii ; -- Begin function _ZN4vllm15rms_norm_kernelIN3c108BFloat16ELi8ELi3EEEvPT_PKS3_lllllS6_fii
	.globl	_ZN4vllm15rms_norm_kernelIN3c108BFloat16ELi8ELi3EEEvPT_PKS3_lllllS6_fii
	.p2align	8
	.type	_ZN4vllm15rms_norm_kernelIN3c108BFloat16ELi8ELi3EEEvPT_PKS3_lllllS6_fii,@function
_ZN4vllm15rms_norm_kernelIN3c108BFloat16ELi8ELi3EEEvPT_PKS3_lllllS6_fii: ; @_ZN4vllm15rms_norm_kernelIN3c108BFloat16ELi8ELi3EEEvPT_PKS3_lllllS6_fii
; %bb.0:
	s_load_dwordx2 s[2:3], s[4:5], 0x28
	s_load_dwordx2 s[30:31], s[4:5], 0x8
	s_mov_b32 s0, 0
	s_waitcnt lgkmcnt(0)
	s_mov_b32 s1, s3
	s_cmp_lg_u64 s[0:1], 0
	s_cbranch_scc0 .LBB26_38
; %bb.1:
	s_ashr_i32 s8, s3, 31
	s_add_u32 s0, s2, s8
	s_mov_b32 s9, s8
	s_addc_u32 s1, s3, s8
	s_xor_b64 s[12:13], s[0:1], s[8:9]
	v_cvt_f32_u32_e32 v1, s12
	v_cvt_f32_u32_e32 v2, s13
	s_sub_u32 s0, 0, s12
	s_subb_u32 s1, 0, s13
	v_madmk_f32 v1, v2, 0x4f800000, v1
	v_rcp_f32_e32 v1, v1
	v_mul_f32_e32 v1, 0x5f7ffffc, v1
	v_mul_f32_e32 v2, 0x2f800000, v1
	v_trunc_f32_e32 v2, v2
	v_madmk_f32 v1, v2, 0xcf800000, v1
	v_cvt_u32_f32_e32 v2, v2
	v_cvt_u32_f32_e32 v1, v1
	v_readfirstlane_b32 s3, v2
	v_readfirstlane_b32 s7, v1
	s_mul_i32 s14, s0, s3
	s_mul_hi_u32 s16, s0, s7
	s_mul_i32 s15, s1, s7
	s_add_i32 s14, s16, s14
	s_add_i32 s14, s14, s15
	s_mul_i32 s17, s0, s7
	s_mul_hi_u32 s15, s7, s14
	s_mul_i32 s16, s7, s14
	s_mul_hi_u32 s7, s7, s17
	s_add_u32 s7, s7, s16
	s_addc_u32 s15, 0, s15
	s_mul_hi_u32 s18, s3, s17
	s_mul_i32 s17, s3, s17
	s_add_u32 s7, s7, s17
	s_mul_hi_u32 s16, s3, s14
	s_addc_u32 s7, s15, s18
	s_addc_u32 s15, s16, 0
	s_mul_i32 s14, s3, s14
	s_add_u32 s7, s7, s14
	s_addc_u32 s14, 0, s15
	v_add_co_u32_e32 v1, vcc, s7, v1
	s_cmp_lg_u64 vcc, 0
	s_addc_u32 s3, s3, s14
	v_readfirstlane_b32 s14, v1
	s_mul_i32 s7, s0, s3
	s_mul_hi_u32 s15, s0, s14
	s_add_i32 s7, s15, s7
	s_mul_i32 s1, s1, s14
	s_add_i32 s7, s7, s1
	s_mul_i32 s0, s0, s14
	s_mul_hi_u32 s15, s3, s0
	s_mul_i32 s16, s3, s0
	s_mul_i32 s18, s14, s7
	s_mul_hi_u32 s0, s14, s0
	s_mul_hi_u32 s17, s14, s7
	s_add_u32 s0, s0, s18
	s_addc_u32 s14, 0, s17
	s_add_u32 s0, s0, s16
	s_mul_hi_u32 s1, s3, s7
	s_addc_u32 s0, s14, s15
	s_addc_u32 s1, s1, 0
	s_mul_i32 s7, s3, s7
	s_add_u32 s0, s0, s7
	s_addc_u32 s1, 0, s1
	v_add_co_u32_e32 v1, vcc, s0, v1
	s_cmp_lg_u64 vcc, 0
	s_addc_u32 s0, s3, s1
	v_readfirstlane_b32 s3, v1
	s_mul_hi_u32 s1, s6, s0
	s_mul_i32 s0, s6, s0
	s_mul_hi_u32 s3, s6, s3
	s_add_u32 s0, s3, s0
	s_addc_u32 s1, 0, s1
	s_add_u32 s0, s0, 0
	s_addc_u32 s0, s1, 0
	s_addc_u32 s1, 0, 0
	s_add_u32 s3, s0, 0
	s_addc_u32 s7, 0, s1
	s_mul_i32 s0, s12, s7
	s_mul_hi_u32 s1, s12, s3
	s_add_i32 s0, s1, s0
	s_mul_i32 s1, s13, s3
	s_add_i32 s14, s0, s1
	s_mul_i32 s1, s12, s3
	v_mov_b32_e32 v1, s1
	s_sub_i32 s0, 0, s14
	v_sub_co_u32_e32 v1, vcc, s6, v1
	s_cmp_lg_u64 vcc, 0
	s_subb_u32 s15, s0, s13
	v_subrev_co_u32_e64 v2, s[0:1], s12, v1
	s_cmp_lg_u64 s[0:1], 0
	s_subb_u32 s0, s15, 0
	s_cmp_ge_u32 s0, s13
	v_readfirstlane_b32 s15, v2
	s_cselect_b32 s1, -1, 0
	s_cmp_ge_u32 s15, s12
	s_cselect_b32 s15, -1, 0
	s_cmp_eq_u32 s0, s13
	s_cselect_b32 s0, s15, s1
	s_add_u32 s1, s3, 1
	s_addc_u32 s15, s7, 0
	s_add_u32 s16, s3, 2
	s_addc_u32 s17, s7, 0
	s_cmp_lg_u32 s0, 0
	s_cselect_b32 s0, s16, s1
	s_cselect_b32 s1, s17, s15
	s_cmp_lg_u64 vcc, 0
	s_subb_u32 s14, 0, s14
	s_cmp_ge_u32 s14, s13
	v_readfirstlane_b32 s16, v1
	s_cselect_b32 s15, -1, 0
	s_cmp_ge_u32 s16, s12
	s_cselect_b32 s12, -1, 0
	s_cmp_eq_u32 s14, s13
	s_cselect_b32 s12, s12, s15
	s_cmp_lg_u32 s12, 0
	s_cselect_b32 s1, s1, s7
	s_cselect_b32 s0, s0, s3
	s_xor_b64 s[0:1], s[0:1], s[8:9]
	s_sub_u32 s0, s0, s8
	s_subb_u32 s1, s1, s8
	s_cbranch_execnz .LBB26_3
.LBB26_2:
	v_cvt_f32_u32_e32 v1, s2
	s_sub_i32 s0, 0, s2
	s_mov_b32 s1, 0
	v_rcp_iflag_f32_e32 v1, v1
	v_mul_f32_e32 v1, 0x4f7ffffe, v1
	v_cvt_u32_f32_e32 v1, v1
	v_readfirstlane_b32 s3, v1
	s_mul_i32 s0, s0, s3
	s_mul_hi_u32 s0, s3, s0
	s_add_i32 s3, s3, s0
	s_mul_hi_u32 s0, s6, s3
	s_mul_i32 s7, s0, s2
	s_sub_i32 s7, s6, s7
	s_add_i32 s3, s0, 1
	s_sub_i32 s8, s7, s2
	s_cmp_ge_u32 s7, s2
	s_cselect_b32 s0, s3, s0
	s_cselect_b32 s7, s8, s7
	s_add_i32 s3, s0, 1
	s_cmp_ge_u32 s7, s2
	s_cselect_b32 s0, s3, s0
.LBB26_3:
	s_load_dwordx4 s[12:15], s[4:5], 0x10
	s_mul_i32 s2, s0, s2
	s_sub_i32 s7, s6, s2
	s_bfe_i64 s[2:3], s[0:1], 0x200000
	s_load_dword s10, s[4:5], 0x48
	s_load_dword s2, s[4:5], 0x5c
	s_waitcnt lgkmcnt(0)
	s_mul_i32 s1, s0, s15
	s_mul_hi_u32 s8, s0, s14
	s_add_i32 s1, s8, s1
	s_mul_i32 s3, s3, s14
	s_add_i32 s1, s1, s3
	s_mul_i32 s0, s0, s14
	s_lshl_b64 s[34:35], s[0:1], 1
	s_add_u32 s3, s30, s34
	s_addc_u32 s8, s31, s35
	s_ashr_i32 s0, s7, 31
	s_mul_i32 s1, s7, s13
	s_mul_hi_u32 s9, s7, s12
	s_add_i32 s1, s9, s1
	s_mul_i32 s0, s0, s12
	s_add_i32 s1, s1, s0
	s_mul_i32 s0, s7, s12
	s_lshl_b64 s[36:37], s[0:1], 1
	s_add_u32 s48, s3, s36
	s_addc_u32 s7, s8, s37
	s_and_b32 s33, s2, 0xffff
	s_and_b32 s0, s48, 15
	s_mov_b32 s1, 0
	s_cmp_lg_u64 s[0:1], 0
	s_cselect_b64 s[0:1], -1, 0
	s_and_b32 s2, s10, 7
	s_cmp_lg_u32 s2, 0
	s_cselect_b64 s[2:3], -1, 0
	s_or_b64 s[0:1], s[2:3], s[0:1]
	s_and_b64 vcc, exec, s[0:1]
	s_cbranch_vccz .LBB26_17
; %bb.4:
	s_sub_i32 s0, 0, s48
	s_bfe_u32 s0, s0, 0x30001
	s_min_i32 s0, s0, s10
	v_cmp_gt_i32_e32 vcc, s0, v0
	v_mov_b32_e32 v1, 0
	s_and_saveexec_b64 s[2:3], vcc
	s_cbranch_execz .LBB26_8
; %bb.5:
	s_add_u32 s1, s36, s34
	s_addc_u32 s8, s37, s35
	s_add_u32 s1, s30, s1
	v_lshlrev_b32_e32 v1, 1, v0
	s_addc_u32 s8, s31, s8
	s_mov_b32 s11, 0
	v_mov_b32_e32 v3, s8
	v_add_co_u32_e32 v2, vcc, s1, v1
	v_addc_co_u32_e32 v3, vcc, 0, v3, vcc
	s_lshl_b32 s1, s33, 1
	s_mov_b64 s[8:9], 0
	v_mov_b32_e32 v1, 0
	v_mov_b32_e32 v4, s11
	;; [unrolled: 1-line block ×3, first 2 shown]
.LBB26_6:                               ; =>This Inner Loop Header: Depth=1
	global_load_ushort v6, v[2:3], off
	v_add_co_u32_e32 v2, vcc, s1, v2
	v_add_u32_e32 v5, s33, v5
	v_addc_co_u32_e32 v3, vcc, v3, v4, vcc
	v_cmp_le_i32_e32 vcc, s0, v5
	s_or_b64 s[8:9], vcc, s[8:9]
	s_waitcnt vmcnt(0)
	v_lshlrev_b32_e32 v6, 16, v6
	v_fmac_f32_e32 v1, v6, v6
	s_andn2_b64 exec, exec, s[8:9]
	s_cbranch_execnz .LBB26_6
; %bb.7:
	s_or_b64 exec, exec, s[8:9]
.LBB26_8:
	s_or_b64 exec, exec, s[2:3]
	s_sub_i32 s11, s10, s0
	s_ashr_i32 s2, s11, 31
	s_lshr_b32 s2, s2, 29
	s_add_i32 s2, s11, s2
	s_ashr_i32 s12, s2, 3
	s_ashr_i32 s1, s0, 31
	v_cmp_gt_i32_e32 vcc, s12, v0
	s_and_saveexec_b64 s[2:3], vcc
	s_cbranch_execz .LBB26_12
; %bb.9:
	s_add_u32 s13, s36, s34
	s_addc_u32 s14, s37, s35
	s_lshl_b64 s[8:9], s[0:1], 1
	s_add_u32 s8, s30, s8
	s_addc_u32 s9, s31, s9
	s_add_u32 s8, s8, s13
	v_lshlrev_b32_e32 v2, 4, v0
	s_addc_u32 s9, s9, s14
	s_mov_b32 s15, 0
	v_mov_b32_e32 v3, s9
	v_add_co_u32_e32 v2, vcc, s8, v2
	v_addc_co_u32_e32 v3, vcc, 0, v3, vcc
	s_lshl_b32 s13, s33, 4
	s_mov_b64 s[8:9], 0
	v_mov_b32_e32 v4, s15
	v_mov_b32_e32 v5, v0
.LBB26_10:                              ; =>This Inner Loop Header: Depth=1
	global_load_dwordx4 v[6:9], v[2:3], off
	v_add_co_u32_e32 v2, vcc, s13, v2
	v_add_u32_e32 v5, s33, v5
	v_addc_co_u32_e32 v3, vcc, v3, v4, vcc
	v_cmp_le_i32_e32 vcc, s12, v5
	s_or_b64 s[8:9], vcc, s[8:9]
	s_waitcnt vmcnt(0)
	v_and_b32_e32 v11, 0xffff0000, v6
	v_lshlrev_b32_e32 v10, 16, v6
	v_and_b32_e32 v13, 0xffff0000, v7
	v_lshlrev_b32_e32 v12, 16, v7
	v_and_b32_e32 v7, 0xffff0000, v8
	v_lshlrev_b32_e32 v6, 16, v8
	v_and_b32_e32 v15, 0xffff0000, v9
	v_lshlrev_b32_e32 v14, 16, v9
	v_pk_mul_f32 v[8:9], v[10:11], v[10:11]
	v_add_f32_e32 v1, v1, v8
	v_pk_mul_f32 v[10:11], v[12:13], v[12:13]
	v_add_f32_e32 v1, v1, v9
	v_add_f32_e32 v1, v1, v10
	v_pk_mul_f32 v[6:7], v[6:7], v[6:7]
	v_add_f32_e32 v1, v1, v11
	;; [unrolled: 3-line block ×3, first 2 shown]
	v_add_f32_e32 v1, v1, v12
	v_add_f32_e32 v1, v1, v13
	s_andn2_b64 exec, exec, s[8:9]
	s_cbranch_execnz .LBB26_10
; %bb.11:
	s_or_b64 exec, exec, s[8:9]
.LBB26_12:
	s_or_b64 exec, exec, s[2:3]
	v_lshl_add_u32 v2, s12, 3, v0
	v_cmp_gt_i32_e32 vcc, s11, v2
	s_and_saveexec_b64 s[2:3], vcc
	s_cbranch_execz .LBB26_16
; %bb.13:
	s_add_u32 s8, s36, s34
	s_addc_u32 s9, s37, s35
	s_lshl_b64 s[0:1], s[0:1], 1
	s_add_u32 s0, s8, s0
	s_addc_u32 s1, s9, s1
	v_ashrrev_i32_e32 v3, 31, v2
	s_add_u32 s0, s30, s0
	v_lshlrev_b64 v[4:5], 1, v[2:3]
	s_addc_u32 s1, s31, s1
	v_mov_b32_e32 v3, s1
	v_add_co_u32_e32 v4, vcc, s0, v4
	s_mov_b32 s9, 0
	v_addc_co_u32_e32 v5, vcc, v3, v5, vcc
	s_lshl_b32 s8, s33, 1
	s_mov_b64 s[0:1], 0
	v_mov_b32_e32 v3, s9
.LBB26_14:                              ; =>This Inner Loop Header: Depth=1
	global_load_ushort v6, v[4:5], off
	v_add_co_u32_e32 v4, vcc, s8, v4
	v_add_u32_e32 v2, s33, v2
	v_addc_co_u32_e32 v5, vcc, v5, v3, vcc
	v_cmp_le_i32_e32 vcc, s11, v2
	s_or_b64 s[0:1], vcc, s[0:1]
	s_waitcnt vmcnt(0)
	v_lshlrev_b32_e32 v6, 16, v6
	v_fmac_f32_e32 v1, v6, v6
	s_andn2_b64 exec, exec, s[0:1]
	s_cbranch_execnz .LBB26_14
; %bb.15:
	s_or_b64 exec, exec, s[0:1]
.LBB26_16:
	s_or_b64 exec, exec, s[2:3]
	s_branch .LBB26_23
.LBB26_17:
                                        ; implicit-def: $vgpr1
	s_cbranch_execz .LBB26_23
; %bb.18:
	s_ashr_i32 s8, s10, 3
	v_cmp_gt_i32_e32 vcc, s8, v0
	v_mov_b32_e32 v1, 0
	s_and_saveexec_b64 s[0:1], vcc
	s_cbranch_execz .LBB26_22
; %bb.19:
	s_add_u32 s2, s36, s34
	s_addc_u32 s3, s37, s35
	s_add_u32 s2, s30, s2
	v_lshlrev_b32_e32 v1, 4, v0
	s_addc_u32 s3, s31, s3
	v_mov_b32_e32 v2, s3
	v_add_co_u32_e32 v1, vcc, s2, v1
	v_addc_co_u32_e32 v3, vcc, 0, v2, vcc
	s_mov_b32 s11, 0
	v_add_co_u32_e32 v2, vcc, 8, v1
	v_addc_co_u32_e32 v3, vcc, 0, v3, vcc
	s_lshl_b32 s9, s33, 4
	s_mov_b64 s[2:3], 0
	v_mov_b32_e32 v1, 0
	v_mov_b32_e32 v4, s11
	;; [unrolled: 1-line block ×3, first 2 shown]
.LBB26_20:                              ; =>This Inner Loop Header: Depth=1
	global_load_dwordx4 v[6:9], v[2:3], off offset:-8
	v_add_co_u32_e32 v2, vcc, s9, v2
	v_add_u32_e32 v5, s33, v5
	v_addc_co_u32_e32 v3, vcc, v3, v4, vcc
	v_cmp_le_i32_e32 vcc, s8, v5
	s_or_b64 s[2:3], vcc, s[2:3]
	s_waitcnt vmcnt(0)
	v_and_b32_e32 v11, 0xffff0000, v6
	v_lshlrev_b32_e32 v10, 16, v6
	v_and_b32_e32 v13, 0xffff0000, v7
	v_lshlrev_b32_e32 v12, 16, v7
	;; [unrolled: 2-line block ×4, first 2 shown]
	v_pk_mul_f32 v[8:9], v[10:11], v[10:11]
	v_add_f32_e32 v1, v1, v8
	v_pk_mul_f32 v[10:11], v[12:13], v[12:13]
	v_add_f32_e32 v1, v9, v1
	v_add_f32_e32 v1, v10, v1
	v_pk_mul_f32 v[6:7], v[6:7], v[6:7]
	v_add_f32_e32 v1, v11, v1
	;; [unrolled: 3-line block ×3, first 2 shown]
	v_add_f32_e32 v1, v12, v1
	v_add_f32_e32 v1, v13, v1
	s_andn2_b64 exec, exec, s[2:3]
	s_cbranch_execnz .LBB26_20
; %bb.21:
	s_or_b64 exec, exec, s[2:3]
.LBB26_22:
	s_or_b64 exec, exec, s[0:1]
.LBB26_23:
	v_mbcnt_lo_u32_b32 v2, -1, 0
	v_mbcnt_hi_u32_b32 v2, -1, v2
	v_and_b32_e32 v3, 63, v2
	v_cmp_ne_u32_e32 vcc, 63, v3
	v_addc_co_u32_e32 v4, vcc, 0, v2, vcc
	v_lshlrev_b32_e32 v4, 2, v4
	ds_bpermute_b32 v4, v4, v1
	v_and_b32_e32 v5, 0x3c0, v0
	v_sub_u32_e64 v5, s33, v5 clamp
	v_add_u32_e32 v6, 1, v2
	v_cmp_lt_u32_e32 vcc, v6, v5
	s_waitcnt lgkmcnt(0)
	v_add_f32_e32 v4, v1, v4
	v_cndmask_b32_e32 v1, v1, v4, vcc
	v_cmp_gt_u32_e32 vcc, 62, v3
	v_cndmask_b32_e64 v4, 0, 1, vcc
	v_lshlrev_b32_e32 v4, 1, v4
	v_add_lshl_u32 v4, v4, v2, 2
	ds_bpermute_b32 v4, v4, v1
	v_add_u32_e32 v6, 2, v2
	v_cmp_lt_u32_e32 vcc, v6, v5
	v_add_u32_e32 v6, 4, v2
	s_waitcnt lgkmcnt(0)
	v_add_f32_e32 v4, v1, v4
	v_cndmask_b32_e32 v1, v1, v4, vcc
	v_cmp_gt_u32_e32 vcc, 60, v3
	v_cndmask_b32_e64 v4, 0, 1, vcc
	v_lshlrev_b32_e32 v4, 2, v4
	v_add_lshl_u32 v4, v4, v2, 2
	ds_bpermute_b32 v4, v4, v1
	v_cmp_lt_u32_e32 vcc, v6, v5
	v_add_u32_e32 v6, 8, v2
	s_waitcnt lgkmcnt(0)
	v_add_f32_e32 v4, v1, v4
	v_cndmask_b32_e32 v1, v1, v4, vcc
	v_cmp_gt_u32_e32 vcc, 56, v3
	v_cndmask_b32_e64 v4, 0, 1, vcc
	v_lshlrev_b32_e32 v4, 3, v4
	v_add_lshl_u32 v4, v4, v2, 2
	ds_bpermute_b32 v4, v4, v1
	;; [unrolled: 10-line block ×3, first 2 shown]
	v_cmp_lt_u32_e32 vcc, v6, v5
	s_waitcnt lgkmcnt(0)
	v_add_f32_e32 v4, v1, v4
	v_cndmask_b32_e32 v1, v1, v4, vcc
	v_cmp_gt_u32_e32 vcc, 32, v3
	v_cndmask_b32_e64 v3, 0, 1, vcc
	v_lshlrev_b32_e32 v3, 5, v3
	v_add_lshl_u32 v3, v3, v2, 2
	ds_bpermute_b32 v3, v3, v1
	v_add_u32_e32 v4, 32, v2
	v_cmp_lt_u32_e32 vcc, v4, v5
	s_waitcnt lgkmcnt(0)
	v_add_f32_e32 v3, v1, v3
	v_cndmask_b32_e32 v1, v1, v3, vcc
	v_cmp_eq_u32_e32 vcc, 0, v2
	s_and_saveexec_b64 s[0:1], vcc
	s_cbranch_execz .LBB26_25
; %bb.24:
	v_lshrrev_b32_e32 v3, 4, v0
	v_and_b32_e32 v3, 60, v3
	ds_write_b32 v3, v1
.LBB26_25:
	s_or_b64 exec, exec, s[0:1]
	v_cmp_gt_u32_e32 vcc, 16, v0
	s_waitcnt lgkmcnt(0)
	s_barrier
	s_and_saveexec_b64 s[2:3], vcc
	s_cbranch_execz .LBB26_27
; %bb.26:
	v_lshlrev_b32_e32 v1, 2, v2
	ds_read_b32 v1, v1
	v_and_b32_e32 v3, 15, v2
	v_cmp_ne_u32_e32 vcc, 15, v3
	v_addc_co_u32_e32 v4, vcc, 0, v2, vcc
	v_lshlrev_b32_e32 v4, 2, v4
	s_waitcnt lgkmcnt(0)
	ds_bpermute_b32 v4, v4, v1
	s_add_i32 s0, s33, 63
	s_lshr_b32 s8, s0, 6
	v_add_u32_e32 v5, 1, v3
	v_cmp_gt_u32_e64 s[0:1], 14, v3
	v_cmp_gt_u32_e32 vcc, s8, v5
	v_cndmask_b32_e64 v5, 0, 1, s[0:1]
	s_waitcnt lgkmcnt(0)
	v_add_f32_e32 v4, v1, v4
	v_lshlrev_b32_e32 v5, 1, v5
	v_cndmask_b32_e32 v4, v1, v4, vcc
	v_add_lshl_u32 v5, v5, v2, 2
	ds_bpermute_b32 v5, v5, v4
	v_add_u32_e32 v6, 2, v3
	v_cmp_gt_u32_e64 s[0:1], s8, v6
	v_add_u32_e32 v6, 4, v3
	s_waitcnt lgkmcnt(0)
	v_add_f32_e32 v5, v4, v5
	v_cndmask_b32_e64 v4, v4, v5, s[0:1]
	v_cmp_gt_u32_e64 s[0:1], 12, v3
	v_cndmask_b32_e64 v5, 0, 1, s[0:1]
	v_lshlrev_b32_e32 v5, 2, v5
	v_add_lshl_u32 v5, v5, v2, 2
	ds_bpermute_b32 v5, v5, v4
	v_cmp_gt_u32_e64 s[0:1], s8, v6
	s_waitcnt lgkmcnt(0)
	v_add_f32_e32 v5, v4, v5
	v_cndmask_b32_e64 v4, v4, v5, s[0:1]
	v_cmp_gt_u32_e64 s[0:1], 8, v3
	v_cndmask_b32_e64 v5, 0, 1, s[0:1]
	v_lshlrev_b32_e32 v5, 3, v5
	v_add_lshl_u32 v2, v5, v2, 2
	ds_bpermute_b32 v2, v2, v4
	v_add_u32_e32 v3, 8, v3
	v_cmp_gt_u32_e64 s[0:1], s8, v3
	s_waitcnt lgkmcnt(0)
	v_add_f32_e32 v2, v4, v2
	v_cndmask_b32_e64 v2, v4, v2, s[0:1]
	v_cndmask_b32_e32 v1, v1, v2, vcc
.LBB26_27:
	s_or_b64 exec, exec, s[2:3]
	v_cmp_eq_u32_e32 vcc, 0, v0
	s_and_saveexec_b64 s[0:1], vcc
	s_cbranch_execz .LBB26_29
; %bb.28:
	v_cvt_f32_i32_e32 v2, s10
	s_load_dword s8, s[4:5], 0x40
	v_div_scale_f32 v3, s[2:3], v2, v2, v1
	v_rcp_f32_e32 v4, v3
	v_div_scale_f32 v5, vcc, v1, v2, v1
	s_mov_b32 s2, 0x800000
	v_fma_f32 v6, -v3, v4, 1.0
	v_fmac_f32_e32 v4, v6, v4
	v_mul_f32_e32 v6, v5, v4
	v_fma_f32 v7, -v3, v6, v5
	v_fmac_f32_e32 v6, v7, v4
	v_fma_f32 v3, -v3, v6, v5
	v_div_fmas_f32 v3, v3, v4, v6
	v_div_fixup_f32 v1, v3, v2, v1
	s_waitcnt lgkmcnt(0)
	v_add_f32_e32 v1, s8, v1
	v_mul_f32_e32 v2, 0x4b800000, v1
	v_cmp_gt_f32_e32 vcc, s2, v1
	v_cndmask_b32_e32 v1, v1, v2, vcc
	v_rsq_f32_e32 v1, v1
	v_mul_f32_e32 v2, 0x45800000, v1
	v_cndmask_b32_e32 v1, v1, v2, vcc
	v_mov_b32_e32 v2, 0
	ds_write_b32 v2, v1 offset:64
.LBB26_29:
	s_or_b64 exec, exec, s[0:1]
	s_ashr_i32 s0, s10, 31
	s_lshr_b32 s0, s0, 29
	s_add_i32 s0, s10, s0
	s_ashr_i32 s49, s0, 3
	v_cmp_gt_i32_e32 vcc, s49, v0
	s_waitcnt lgkmcnt(0)
	s_barrier
	s_and_saveexec_b64 s[0:1], vcc
	s_cbranch_execz .LBB26_37
; %bb.30:
	v_cvt_f32_u32_e32 v1, s33
	v_add_u32_e32 v3, s33, v0
	v_mov_b32_e32 v6, s33
	v_cmp_gt_i32_e32 vcc, s49, v3
	v_rcp_iflag_f32_e32 v1, v1
	v_max_i32_e32 v4, s49, v3
	v_addc_co_u32_e64 v3, s[0:1], v0, v6, vcc
	v_mul_f32_e32 v1, 0x4f7ffffe, v1
	v_cvt_u32_f32_e32 v1, v1
	s_sub_i32 s0, 0, s33
	v_sub_u32_e32 v3, v4, v3
	v_mov_b32_e32 v5, 0
	v_mul_lo_u32 v4, s0, v1
	v_mul_hi_u32 v4, v1, v4
	v_add_u32_e32 v1, v1, v4
	v_mul_hi_u32 v1, v3, v1
	v_mul_lo_u32 v4, v1, s33
	v_sub_u32_e32 v3, v3, v4
	v_add_u32_e32 v4, 1, v1
	v_cmp_le_u32_e64 s[0:1], s33, v3
	v_cndmask_b32_e64 v1, v1, v4, s[0:1]
	v_subrev_u32_e32 v4, s33, v3
	v_cndmask_b32_e64 v3, v3, v4, s[0:1]
	s_load_dwordx2 s[40:41], s[4:5], 0x0
	s_load_dwordx2 s[38:39], s[4:5], 0x38
	ds_read_b32 v2, v5 offset:64
	v_add_u32_e32 v4, 1, v1
	v_cmp_le_u32_e64 s[0:1], s33, v3
	v_cndmask_b32_e64 v1, v1, v4, s[0:1]
	v_addc_co_u32_e32 v12, vcc, 1, v1, vcc
	s_cmp_eq_u32 s33, 1
	v_cmp_lt_u32_e32 vcc, 1, v12
	s_cselect_b64 s[0:1], -1, 0
	s_mul_i32 s42, s6, s10
	s_mov_b32 s43, 0
	s_and_b64 s[2:3], vcc, s[0:1]
	s_mov_b64 s[0:1], -1
	s_and_saveexec_b64 s[44:45], s[2:3]
	s_cbranch_execz .LBB26_34
; %bb.31:
	s_lshl_b64 s[0:1], s[42:43], 1
	s_waitcnt lgkmcnt(0)
	s_add_u32 s50, s40, s0
	s_addc_u32 s0, s41, s1
	v_and_b32_e32 v13, -2, v12
	v_add_u32_e32 v1, 1, v0
	v_mov_b32_e32 v3, v2
	s_mov_b64 s[46:47], 0
	v_mov_b32_e32 v14, s7
	v_mov_b32_e32 v15, s39
	s_movk_i32 s51, 0x7fff
	v_mov_b32_e32 v16, 0x7fc00000
	v_mov_b32_e32 v17, 0x7fc0
	;; [unrolled: 1-line block ×3, first 2 shown]
	s_mov_b32 s52, 0x5040100
	v_mov_b32_e32 v19, v13
	v_pk_mov_b32 v[6:7], v[0:1], v[0:1] op_sel:[0,1]
.LBB26_32:                              ; =>This Inner Loop Header: Depth=1
	v_mov_b32_e32 v4, v6
	v_add_u32_e32 v19, -2, v19
	v_lshlrev_b64 v[8:9], 4, v[4:5]
	v_mov_b32_e32 v4, v7
	v_cmp_eq_u32_e32 vcc, 0, v19
	v_lshlrev_b64 v[28:29], 4, v[4:5]
	s_or_b64 s[46:47], vcc, s[46:47]
	v_add_co_u32_e32 v36, vcc, s48, v28
	v_add_co_u32_e64 v10, s[0:1], s48, v8
	v_addc_co_u32_e32 v37, vcc, v14, v29, vcc
	v_addc_co_u32_e64 v11, s[0:1], v14, v9, s[0:1]
	v_add_co_u32_e32 v38, vcc, s38, v28
	v_add_co_u32_e64 v30, s[0:1], s38, v8
	v_addc_co_u32_e32 v39, vcc, v15, v29, vcc
	v_addc_co_u32_e64 v31, s[0:1], v15, v9, s[0:1]
	global_load_dwordx4 v[20:23], v[10:11], off
	global_load_dwordx4 v[24:27], v[30:31], off
	v_add_co_u32_e32 v10, vcc, s50, v28
	v_addc_co_u32_e32 v11, vcc, v18, v29, vcc
	global_load_dwordx4 v[28:31], v[36:37], off
	global_load_dwordx4 v[32:35], v[38:39], off
	v_add_co_u32_e64 v8, s[0:1], s50, v8
	v_addc_co_u32_e64 v9, s[0:1], v18, v9, s[0:1]
	v_add_u32_e32 v6, 2, v6
	v_add_u32_e32 v7, 2, v7
	s_waitcnt vmcnt(3)
	v_lshlrev_b32_e32 v36, 16, v20
	v_and_b32_e32 v20, 0xffff0000, v20
	v_lshlrev_b32_e32 v40, 16, v21
	v_and_b32_e32 v44, 0xffff0000, v21
	v_lshlrev_b32_e32 v48, 16, v22
	s_waitcnt vmcnt(1)
	v_and_b32_e32 v21, 0xffff0000, v28
	v_lshlrev_b32_e32 v41, 16, v29
	v_and_b32_e32 v22, 0xffff0000, v22
	v_lshlrev_b32_e32 v52, 16, v23
	;; [unrolled: 2-line block ×5, first 2 shown]
	v_and_b32_e32 v57, 0xffff0000, v31
	v_pk_mul_f32 v[20:21], v[2:3], v[20:21]
	v_pk_mul_f32 v[30:31], v[2:3], v[40:41]
	v_lshlrev_b32_e32 v42, 16, v25
	v_and_b32_e32 v46, 0xffff0000, v25
	v_lshlrev_b32_e32 v54, 16, v27
	v_and_b32_e32 v58, 0xffff0000, v27
	s_waitcnt vmcnt(0)
	v_lshlrev_b32_e32 v39, 16, v32
	v_and_b32_e32 v25, 0xffff0000, v32
	v_lshlrev_b32_e32 v43, 16, v33
	v_and_b32_e32 v47, 0xffff0000, v33
	;; [unrolled: 2-line block ×4, first 2 shown]
	v_pk_mul_f32 v[28:29], v[2:3], v[36:37]
	v_pk_mul_f32 v[32:33], v[2:3], v[44:45]
	v_pk_mul_f32 v[34:35], v[2:3], v[48:49]
	v_pk_mul_f32 v[22:23], v[2:3], v[22:23]
	v_pk_mul_f32 v[36:37], v[2:3], v[52:53]
	v_pk_mul_f32 v[40:41], v[2:3], v[56:57]
	v_bfe_u32 v44, v20, 16, 1
	v_bfe_u32 v45, v21, 16, 1
	;; [unrolled: 1-line block ×12, first 2 shown]
	v_add3_u32 v45, v21, v45, s51
	v_add3_u32 v44, v20, v44, s51
	v_cmp_o_f32_e32 vcc, v21, v21
	v_cmp_o_f32_e64 s[0:1], v20, v20
	v_bfe_u32 v20, v36, 16, 1
	v_bfe_u32 v21, v37, 16, 1
	v_add3_u32 v49, v31, v49, s51
	v_add3_u32 v48, v30, v48, s51
	v_cmp_o_f32_e64 s[2:3], v31, v31
	v_cmp_o_f32_e64 s[4:5], v30, v30
	v_bfe_u32 v30, v40, 16, 1
	v_bfe_u32 v31, v41, 16, 1
	v_add3_u32 v4, v29, v4, s51
	v_add3_u32 v1, v28, v1, s51
	v_add3_u32 v53, v33, v53, s51
	v_add3_u32 v52, v32, v52, s51
	v_add3_u32 v57, v35, v57, s51
	v_add3_u32 v56, v34, v56, s51
	v_add3_u32 v61, v23, v61, s51
	v_add3_u32 v60, v22, v60, s51
	v_add3_u32 v21, v37, v21, s51
	v_add3_u32 v20, v36, v20, s51
	v_add3_u32 v31, v41, v31, s51
	v_add3_u32 v30, v40, v30, s51
	v_and_b32_e32 v44, 0xffff0000, v44
	v_and_b32_e32 v45, 0xffff0000, v45
	;; [unrolled: 1-line block ×6, first 2 shown]
	v_cmp_o_f32_e64 s[6:7], v28, v28
	v_and_b32_e32 v52, 0xffff0000, v52
	v_and_b32_e32 v53, 0xffff0000, v53
	v_cmp_o_f32_e64 s[8:9], v33, v33
	v_cmp_o_f32_e64 s[10:11], v32, v32
	v_and_b32_e32 v32, 0xffff0000, v56
	v_and_b32_e32 v33, 0xffff0000, v57
	v_cmp_o_f32_e64 s[12:13], v35, v35
	;; [unrolled: 4-line block ×5, first 2 shown]
	v_cmp_o_f32_e64 s[26:27], v40, v40
	v_cmp_o_f32_e64 s[28:29], v29, v29
	v_lshlrev_b32_e32 v38, 16, v24
	v_and_b32_e32 v24, 0xffff0000, v24
	v_lshlrev_b32_e32 v50, 16, v26
	v_and_b32_e32 v26, 0xffff0000, v26
	v_cndmask_b32_e64 v21, v16, v4, s[28:29]
	v_cndmask_b32_e64 v20, v16, v1, s[6:7]
	v_cndmask_b32_e32 v23, v16, v45, vcc
	v_cndmask_b32_e64 v22, v16, v44, s[0:1]
	v_cndmask_b32_e64 v29, v16, v49, s[2:3]
	;; [unrolled: 1-line block ×13, first 2 shown]
	v_pk_mul_f32 v[20:21], v[20:21], v[38:39]
	v_pk_mul_f32 v[22:23], v[22:23], v[24:25]
	;; [unrolled: 1-line block ×8, first 2 shown]
	v_bfe_u32 v4, v20, 16, 1
	v_bfe_u32 v36, v23, 16, 1
	;; [unrolled: 1-line block ×16, first 2 shown]
	v_add3_u32 v4, v20, v4, s51
	v_add3_u32 v37, v22, v37, s51
	;; [unrolled: 1-line block ×16, first 2 shown]
	v_lshrrev_b32_e32 v4, 16, v4
	v_cmp_o_f32_e32 vcc, v20, v20
	v_lshrrev_b32_e32 v20, 16, v36
	v_lshrrev_b32_e32 v36, 16, v37
	v_cmp_o_f32_e64 s[0:1], v23, v23
	v_cmp_o_f32_e64 s[2:3], v22, v22
	v_lshrrev_b32_e32 v22, 16, v38
	v_lshrrev_b32_e32 v23, 16, v39
	v_cmp_o_f32_e64 s[4:5], v25, v25
	v_cmp_o_f32_e64 s[6:7], v24, v24
	v_lshrrev_b32_e32 v25, 16, v41
	v_cmp_o_f32_e64 s[8:9], v29, v29
	v_cmp_o_f32_e64 s[10:11], v28, v28
	v_lshrrev_b32_e32 v28, 16, v42
	v_lshrrev_b32_e32 v29, 16, v43
	v_cmp_o_f32_e64 s[12:13], v31, v31
	v_cmp_o_f32_e64 s[14:15], v30, v30
	v_lshrrev_b32_e32 v30, 16, v44
	;; [unrolled: 4-line block ×3, first 2 shown]
	v_cmp_o_f32_e64 s[20:21], v33, v33
	v_cmp_o_f32_e64 s[22:23], v32, v32
	v_lshrrev_b32_e32 v33, 16, v49
	v_cmp_o_f32_e64 s[26:27], v34, v34
	v_lshrrev_b32_e32 v1, 16, v1
	v_lshrrev_b32_e32 v24, 16, v40
	;; [unrolled: 1-line block ×4, first 2 shown]
	v_cmp_o_f32_e64 s[24:25], v35, v35
	v_cmp_o_f32_e64 s[28:29], v21, v21
	v_cndmask_b32_e32 v4, v17, v4, vcc
	v_cndmask_b32_e64 v34, v17, v20, s[0:1]
	v_cndmask_b32_e64 v20, v17, v36, s[2:3]
	;; [unrolled: 1-line block ×15, first 2 shown]
	v_perm_b32 v21, v22, v21, s52
	v_perm_b32 v20, v20, v4, s52
	;; [unrolled: 1-line block ×8, first 2 shown]
	global_store_dwordx4 v[8:9], v[20:23], off
	global_store_dwordx4 v[10:11], v[24:27], off
	s_andn2_b64 exec, exec, s[46:47]
	s_cbranch_execnz .LBB26_32
; %bb.33:
	s_or_b64 exec, exec, s[46:47]
	v_cmp_ne_u32_e32 vcc, v12, v13
	v_add_u32_e32 v0, v0, v13
	s_orn2_b64 s[0:1], vcc, exec
.LBB26_34:
	s_or_b64 exec, exec, s[44:45]
	s_and_b64 exec, exec, s[0:1]
	s_cbranch_execz .LBB26_37
; %bb.35:
	s_lshl_b64 s[0:1], s[42:43], 1
	v_mov_b32_e32 v1, 0
	s_waitcnt lgkmcnt(0)
	s_add_u32 s0, s40, s0
	v_lshlrev_b64 v[4:5], 4, v[0:1]
	s_addc_u32 s1, s41, s1
	s_lshl_b32 s18, s33, 4
	v_add_co_u32_e32 v1, vcc, s0, v4
	s_add_u32 s0, s36, s34
	v_mov_b32_e32 v6, s1
	s_addc_u32 s1, s37, s35
	s_add_u32 s0, s30, s0
	v_addc_co_u32_e32 v10, vcc, v6, v5, vcc
	s_addc_u32 s1, s31, s1
	v_mov_b32_e32 v6, s1
	v_add_co_u32_e32 v7, vcc, s0, v4
	v_addc_co_u32_e32 v6, vcc, v6, v5, vcc
	v_add_co_u32_e32 v11, vcc, 8, v7
	v_addc_co_u32_e32 v12, vcc, 0, v6, vcc
	v_mov_b32_e32 v6, s39
	v_add_co_u32_e32 v4, vcc, s38, v4
	v_addc_co_u32_e32 v5, vcc, v5, v6, vcc
	v_add_co_u32_e32 v13, vcc, 8, v4
	v_mov_b32_e32 v3, v2
	v_addc_co_u32_e32 v14, vcc, 0, v5, vcc
	s_mov_b64 s[14:15], 0
	v_mov_b32_e32 v4, v2
	v_mov_b32_e32 v5, v2
	s_movk_i32 s19, 0x7fff
	v_mov_b32_e32 v15, 0x7fc00000
	v_mov_b32_e32 v16, 0x7fc0
	s_mov_b32 s20, 0x5040100
	s_mov_b64 s[16:17], 0
.LBB26_36:                              ; =>This Inner Loop Header: Depth=1
	v_mov_b32_e32 v7, s17
	v_add_co_u32_e64 v26, s[2:3], s16, v11
	v_add_co_u32_e32 v8, vcc, s16, v13
	v_addc_co_u32_e64 v27, s[2:3], v12, v7, s[2:3]
	v_addc_co_u32_e32 v9, vcc, v14, v7, vcc
	global_load_dwordx4 v[18:21], v[26:27], off offset:-8
	global_load_dwordx4 v[22:25], v[8:9], off offset:-8
	v_add_co_u32_e64 v6, s[0:1], s16, v1
	v_add_u32_e32 v0, s33, v0
	s_add_u32 s16, s16, s18
	v_addc_co_u32_e64 v7, vcc, v10, v7, s[0:1]
	s_addc_u32 s17, s17, 0
	v_cmp_le_i32_e32 vcc, s49, v0
	s_or_b64 s[14:15], vcc, s[14:15]
	s_waitcnt vmcnt(1)
	v_and_b32_e32 v9, 0xffff0000, v19
	v_lshlrev_b32_e32 v8, 16, v19
	v_and_b32_e32 v19, 0xffff0000, v18
	v_lshlrev_b32_e32 v18, 16, v18
	v_and_b32_e32 v29, 0xffff0000, v21
	v_lshlrev_b32_e32 v28, 16, v21
	v_and_b32_e32 v21, 0xffff0000, v20
	v_lshlrev_b32_e32 v20, 16, v20
	v_pk_mul_f32 v[18:19], v[2:3], v[18:19]
	v_pk_mul_f32 v[8:9], v[4:5], v[8:9]
	;; [unrolled: 1-line block ×4, first 2 shown]
	v_bfe_u32 v17, v18, 16, 1
	v_bfe_u32 v32, v19, 16, 1
	;; [unrolled: 1-line block ×8, first 2 shown]
	v_add3_u32 v34, v9, v34, s19
	v_add3_u32 v33, v8, v33, s19
	;; [unrolled: 1-line block ×8, first 2 shown]
	v_and_b32_e32 v17, 0xffff0000, v17
	v_and_b32_e32 v32, 0xffff0000, v32
	;; [unrolled: 1-line block ×4, first 2 shown]
	v_cmp_o_f32_e32 vcc, v8, v8
	v_cmp_o_f32_e64 s[0:1], v19, v19
	v_cmp_o_f32_e64 s[2:3], v18, v18
	v_and_b32_e32 v35, 0xffff0000, v35
	v_and_b32_e32 v36, 0xffff0000, v36
	;; [unrolled: 1-line block ×4, first 2 shown]
	v_cmp_o_f32_e64 s[4:5], v29, v29
	v_cmp_o_f32_e64 s[6:7], v28, v28
	;; [unrolled: 1-line block ×5, first 2 shown]
	s_waitcnt vmcnt(0)
	v_and_b32_e32 v27, 0xffff0000, v23
	v_lshlrev_b32_e32 v26, 16, v23
	v_and_b32_e32 v23, 0xffff0000, v22
	v_lshlrev_b32_e32 v22, 16, v22
	v_and_b32_e32 v31, 0xffff0000, v25
	v_lshlrev_b32_e32 v30, 16, v25
	v_and_b32_e32 v25, 0xffff0000, v24
	v_lshlrev_b32_e32 v24, 16, v24
	v_cndmask_b32_e64 v9, v15, v34, s[12:13]
	v_cndmask_b32_e32 v8, v15, v33, vcc
	v_cndmask_b32_e64 v19, v15, v32, s[0:1]
	v_cndmask_b32_e64 v18, v15, v17, s[2:3]
	;; [unrolled: 1-line block ×6, first 2 shown]
	v_pk_mul_f32 v[18:19], v[18:19], v[22:23]
	v_pk_mul_f32 v[8:9], v[8:9], v[26:27]
	;; [unrolled: 1-line block ×4, first 2 shown]
	v_bfe_u32 v17, v18, 16, 1
	v_bfe_u32 v24, v19, 16, 1
	;; [unrolled: 1-line block ×8, first 2 shown]
	v_add3_u32 v26, v9, v26, s19
	v_add3_u32 v25, v8, v25, s19
	;; [unrolled: 1-line block ×8, first 2 shown]
	v_lshrrev_b32_e32 v17, 16, v17
	v_lshrrev_b32_e32 v24, 16, v24
	;; [unrolled: 1-line block ×4, first 2 shown]
	v_cmp_o_f32_e32 vcc, v19, v19
	v_cmp_o_f32_e64 s[0:1], v8, v8
	v_cmp_o_f32_e64 s[2:3], v9, v9
	v_lshrrev_b32_e32 v8, 16, v27
	v_lshrrev_b32_e32 v9, 16, v28
	;; [unrolled: 1-line block ×4, first 2 shown]
	v_cmp_o_f32_e64 s[4:5], v22, v22
	v_cmp_o_f32_e64 s[6:7], v23, v23
	;; [unrolled: 1-line block ×5, first 2 shown]
	v_cndmask_b32_e64 v17, v16, v17, s[12:13]
	v_cndmask_b32_e32 v18, v16, v24, vcc
	v_cndmask_b32_e64 v22, v16, v25, s[0:1]
	v_cndmask_b32_e64 v23, v16, v26, s[2:3]
	;; [unrolled: 1-line block ×6, first 2 shown]
	v_perm_b32 v21, v20, v19, s20
	v_perm_b32 v20, v9, v8, s20
	;; [unrolled: 1-line block ×4, first 2 shown]
	global_store_dwordx4 v[6:7], v[18:21], off
	s_andn2_b64 exec, exec, s[14:15]
	s_cbranch_execnz .LBB26_36
.LBB26_37:
	s_endpgm
.LBB26_38:
                                        ; implicit-def: $sgpr0_sgpr1
	s_branch .LBB26_2
	.section	.rodata,"a",@progbits
	.p2align	6, 0x0
	.amdhsa_kernel _ZN4vllm15rms_norm_kernelIN3c108BFloat16ELi8ELi3EEEvPT_PKS3_lllllS6_fii
		.amdhsa_group_segment_fixed_size 68
		.amdhsa_private_segment_fixed_size 0
		.amdhsa_kernarg_size 336
		.amdhsa_user_sgpr_count 6
		.amdhsa_user_sgpr_private_segment_buffer 1
		.amdhsa_user_sgpr_dispatch_ptr 0
		.amdhsa_user_sgpr_queue_ptr 0
		.amdhsa_user_sgpr_kernarg_segment_ptr 1
		.amdhsa_user_sgpr_dispatch_id 0
		.amdhsa_user_sgpr_flat_scratch_init 0
		.amdhsa_user_sgpr_kernarg_preload_length 0
		.amdhsa_user_sgpr_kernarg_preload_offset 0
		.amdhsa_user_sgpr_private_segment_size 0
		.amdhsa_uses_dynamic_stack 0
		.amdhsa_system_sgpr_private_segment_wavefront_offset 0
		.amdhsa_system_sgpr_workgroup_id_x 1
		.amdhsa_system_sgpr_workgroup_id_y 0
		.amdhsa_system_sgpr_workgroup_id_z 0
		.amdhsa_system_sgpr_workgroup_info 0
		.amdhsa_system_vgpr_workitem_id 0
		.amdhsa_next_free_vgpr 62
		.amdhsa_next_free_sgpr 53
		.amdhsa_accum_offset 64
		.amdhsa_reserve_vcc 1
		.amdhsa_reserve_flat_scratch 0
		.amdhsa_float_round_mode_32 0
		.amdhsa_float_round_mode_16_64 0
		.amdhsa_float_denorm_mode_32 3
		.amdhsa_float_denorm_mode_16_64 3
		.amdhsa_dx10_clamp 1
		.amdhsa_ieee_mode 1
		.amdhsa_fp16_overflow 0
		.amdhsa_tg_split 0
		.amdhsa_exception_fp_ieee_invalid_op 0
		.amdhsa_exception_fp_denorm_src 0
		.amdhsa_exception_fp_ieee_div_zero 0
		.amdhsa_exception_fp_ieee_overflow 0
		.amdhsa_exception_fp_ieee_underflow 0
		.amdhsa_exception_fp_ieee_inexact 0
		.amdhsa_exception_int_div_zero 0
	.end_amdhsa_kernel
	.section	.text._ZN4vllm15rms_norm_kernelIN3c108BFloat16ELi8ELi3EEEvPT_PKS3_lllllS6_fii,"axG",@progbits,_ZN4vllm15rms_norm_kernelIN3c108BFloat16ELi8ELi3EEEvPT_PKS3_lllllS6_fii,comdat
.Lfunc_end26:
	.size	_ZN4vllm15rms_norm_kernelIN3c108BFloat16ELi8ELi3EEEvPT_PKS3_lllllS6_fii, .Lfunc_end26-_ZN4vllm15rms_norm_kernelIN3c108BFloat16ELi8ELi3EEEvPT_PKS3_lllllS6_fii
                                        ; -- End function
	.section	.AMDGPU.csdata,"",@progbits
; Kernel info:
; codeLenInByte = 5592
; NumSgprs: 57
; NumVgprs: 62
; NumAgprs: 0
; TotalNumVgprs: 62
; ScratchSize: 0
; MemoryBound: 0
; FloatMode: 240
; IeeeMode: 1
; LDSByteSize: 68 bytes/workgroup (compile time only)
; SGPRBlocks: 7
; VGPRBlocks: 7
; NumSGPRsForWavesPerEU: 57
; NumVGPRsForWavesPerEU: 62
; AccumOffset: 64
; Occupancy: 8
; WaveLimiterHint : 0
; COMPUTE_PGM_RSRC2:SCRATCH_EN: 0
; COMPUTE_PGM_RSRC2:USER_SGPR: 6
; COMPUTE_PGM_RSRC2:TRAP_HANDLER: 0
; COMPUTE_PGM_RSRC2:TGID_X_EN: 1
; COMPUTE_PGM_RSRC2:TGID_Y_EN: 0
; COMPUTE_PGM_RSRC2:TGID_Z_EN: 0
; COMPUTE_PGM_RSRC2:TIDIG_COMP_CNT: 0
; COMPUTE_PGM_RSRC3_GFX90A:ACCUM_OFFSET: 15
; COMPUTE_PGM_RSRC3_GFX90A:TG_SPLIT: 0
	.section	.text._ZN4vllm15rms_norm_kernelIN3c108BFloat16ELi4ELi3EEEvPT_PKS3_lllllS6_fii,"axG",@progbits,_ZN4vllm15rms_norm_kernelIN3c108BFloat16ELi4ELi3EEEvPT_PKS3_lllllS6_fii,comdat
	.protected	_ZN4vllm15rms_norm_kernelIN3c108BFloat16ELi4ELi3EEEvPT_PKS3_lllllS6_fii ; -- Begin function _ZN4vllm15rms_norm_kernelIN3c108BFloat16ELi4ELi3EEEvPT_PKS3_lllllS6_fii
	.globl	_ZN4vllm15rms_norm_kernelIN3c108BFloat16ELi4ELi3EEEvPT_PKS3_lllllS6_fii
	.p2align	8
	.type	_ZN4vllm15rms_norm_kernelIN3c108BFloat16ELi4ELi3EEEvPT_PKS3_lllllS6_fii,@function
_ZN4vllm15rms_norm_kernelIN3c108BFloat16ELi4ELi3EEEvPT_PKS3_lllllS6_fii: ; @_ZN4vllm15rms_norm_kernelIN3c108BFloat16ELi4ELi3EEEvPT_PKS3_lllllS6_fii
; %bb.0:
	s_load_dwordx2 s[8:9], s[4:5], 0x28
	s_load_dwordx2 s[2:3], s[4:5], 0x8
	s_mov_b32 s0, 0
	s_waitcnt lgkmcnt(0)
	s_mov_b32 s1, s9
	s_cmp_lg_u64 s[0:1], 0
	s_cbranch_scc0 .LBB27_33
; %bb.1:
	s_ashr_i32 s10, s9, 31
	s_add_u32 s0, s8, s10
	s_mov_b32 s11, s10
	s_addc_u32 s1, s9, s10
	s_xor_b64 s[14:15], s[0:1], s[10:11]
	v_cvt_f32_u32_e32 v1, s14
	v_cvt_f32_u32_e32 v2, s15
	s_sub_u32 s0, 0, s14
	s_subb_u32 s1, 0, s15
	v_madmk_f32 v1, v2, 0x4f800000, v1
	v_rcp_f32_e32 v1, v1
	v_mul_f32_e32 v1, 0x5f7ffffc, v1
	v_mul_f32_e32 v2, 0x2f800000, v1
	v_trunc_f32_e32 v2, v2
	v_madmk_f32 v1, v2, 0xcf800000, v1
	v_cvt_u32_f32_e32 v2, v2
	v_cvt_u32_f32_e32 v1, v1
	v_readfirstlane_b32 s7, v2
	v_readfirstlane_b32 s9, v1
	s_mul_i32 s16, s0, s7
	s_mul_hi_u32 s18, s0, s9
	s_mul_i32 s17, s1, s9
	s_add_i32 s16, s18, s16
	s_add_i32 s16, s16, s17
	s_mul_i32 s19, s0, s9
	s_mul_hi_u32 s17, s9, s16
	s_mul_i32 s18, s9, s16
	s_mul_hi_u32 s9, s9, s19
	s_add_u32 s9, s9, s18
	s_addc_u32 s17, 0, s17
	s_mul_hi_u32 s20, s7, s19
	s_mul_i32 s19, s7, s19
	s_add_u32 s9, s9, s19
	s_mul_hi_u32 s18, s7, s16
	s_addc_u32 s9, s17, s20
	s_addc_u32 s17, s18, 0
	s_mul_i32 s16, s7, s16
	s_add_u32 s9, s9, s16
	s_addc_u32 s16, 0, s17
	v_add_co_u32_e32 v1, vcc, s9, v1
	s_cmp_lg_u64 vcc, 0
	s_addc_u32 s7, s7, s16
	v_readfirstlane_b32 s16, v1
	s_mul_i32 s9, s0, s7
	s_mul_hi_u32 s17, s0, s16
	s_add_i32 s9, s17, s9
	s_mul_i32 s1, s1, s16
	s_add_i32 s9, s9, s1
	s_mul_i32 s0, s0, s16
	s_mul_hi_u32 s17, s7, s0
	s_mul_i32 s18, s7, s0
	s_mul_i32 s20, s16, s9
	s_mul_hi_u32 s0, s16, s0
	s_mul_hi_u32 s19, s16, s9
	s_add_u32 s0, s0, s20
	s_addc_u32 s16, 0, s19
	s_add_u32 s0, s0, s18
	s_mul_hi_u32 s1, s7, s9
	s_addc_u32 s0, s16, s17
	s_addc_u32 s1, s1, 0
	s_mul_i32 s9, s7, s9
	s_add_u32 s0, s0, s9
	s_addc_u32 s1, 0, s1
	v_add_co_u32_e32 v1, vcc, s0, v1
	s_cmp_lg_u64 vcc, 0
	s_addc_u32 s0, s7, s1
	v_readfirstlane_b32 s7, v1
	s_mul_hi_u32 s1, s6, s0
	s_mul_i32 s0, s6, s0
	s_mul_hi_u32 s7, s6, s7
	s_add_u32 s0, s7, s0
	s_addc_u32 s1, 0, s1
	s_add_u32 s0, s0, 0
	s_addc_u32 s0, s1, 0
	s_addc_u32 s1, 0, 0
	s_add_u32 s7, s0, 0
	s_addc_u32 s9, 0, s1
	s_mul_i32 s0, s14, s9
	s_mul_hi_u32 s1, s14, s7
	s_add_i32 s0, s1, s0
	s_mul_i32 s1, s15, s7
	s_add_i32 s16, s0, s1
	s_mul_i32 s1, s14, s7
	v_mov_b32_e32 v1, s1
	s_sub_i32 s0, 0, s16
	v_sub_co_u32_e32 v1, vcc, s6, v1
	s_cmp_lg_u64 vcc, 0
	s_subb_u32 s17, s0, s15
	v_subrev_co_u32_e64 v2, s[0:1], s14, v1
	s_cmp_lg_u64 s[0:1], 0
	s_subb_u32 s0, s17, 0
	s_cmp_ge_u32 s0, s15
	v_readfirstlane_b32 s17, v2
	s_cselect_b32 s1, -1, 0
	s_cmp_ge_u32 s17, s14
	s_cselect_b32 s17, -1, 0
	s_cmp_eq_u32 s0, s15
	s_cselect_b32 s0, s17, s1
	s_add_u32 s1, s7, 1
	s_addc_u32 s17, s9, 0
	s_add_u32 s18, s7, 2
	s_addc_u32 s19, s9, 0
	s_cmp_lg_u32 s0, 0
	s_cselect_b32 s0, s18, s1
	s_cselect_b32 s1, s19, s17
	s_cmp_lg_u64 vcc, 0
	s_subb_u32 s16, 0, s16
	s_cmp_ge_u32 s16, s15
	v_readfirstlane_b32 s18, v1
	s_cselect_b32 s17, -1, 0
	s_cmp_ge_u32 s18, s14
	s_cselect_b32 s14, -1, 0
	s_cmp_eq_u32 s16, s15
	s_cselect_b32 s14, s14, s17
	s_cmp_lg_u32 s14, 0
	s_cselect_b32 s1, s1, s9
	s_cselect_b32 s0, s0, s7
	s_xor_b64 s[0:1], s[0:1], s[10:11]
	s_sub_u32 s0, s0, s10
	s_subb_u32 s1, s1, s10
	s_cbranch_execnz .LBB27_3
.LBB27_2:
	v_cvt_f32_u32_e32 v1, s8
	s_sub_i32 s0, 0, s8
	s_mov_b32 s1, 0
	v_rcp_iflag_f32_e32 v1, v1
	v_mul_f32_e32 v1, 0x4f7ffffe, v1
	v_cvt_u32_f32_e32 v1, v1
	v_readfirstlane_b32 s7, v1
	s_mul_i32 s0, s0, s7
	s_mul_hi_u32 s0, s7, s0
	s_add_i32 s7, s7, s0
	s_mul_hi_u32 s0, s6, s7
	s_mul_i32 s9, s0, s8
	s_sub_i32 s9, s6, s9
	s_add_i32 s7, s0, 1
	s_sub_i32 s10, s9, s8
	s_cmp_ge_u32 s9, s8
	s_cselect_b32 s0, s7, s0
	s_cselect_b32 s9, s10, s9
	s_add_i32 s7, s0, 1
	s_cmp_ge_u32 s9, s8
	s_cselect_b32 s0, s7, s0
.LBB27_3:
	s_mul_i32 s7, s0, s8
	s_load_dwordx4 s[8:11], s[4:5], 0x10
	s_bfe_i64 s[12:13], s[0:1], 0x200000
	s_sub_i32 s7, s6, s7
	s_load_dword s17, s[4:5], 0x48
	s_load_dword s12, s[4:5], 0x5c
	s_waitcnt lgkmcnt(0)
	s_mul_i32 s1, s0, s11
	s_mul_hi_u32 s11, s0, s10
	s_add_i32 s1, s11, s1
	s_mul_i32 s11, s13, s10
	s_add_i32 s1, s1, s11
	s_mul_i32 s0, s0, s10
	s_lshl_b64 s[0:1], s[0:1], 1
	s_add_u32 s10, s2, s0
	s_addc_u32 s11, s3, s1
	s_ashr_i32 s13, s7, 31
	s_mul_i32 s9, s7, s9
	s_mul_hi_u32 s14, s7, s8
	s_add_i32 s9, s14, s9
	s_mul_i32 s13, s13, s8
	s_add_i32 s9, s9, s13
	s_mul_i32 s8, s7, s8
	s_lshl_b64 s[8:9], s[8:9], 1
	s_add_u32 s7, s10, s8
	s_addc_u32 s18, s11, s9
	s_and_b32 s16, s12, 0xffff
	s_and_b32 s10, s7, 7
	s_mov_b32 s11, 0
	s_cmp_lg_u64 s[10:11], 0
	s_cselect_b64 s[10:11], -1, 0
	s_and_b32 s12, s17, 3
	s_cmp_lg_u32 s12, 0
	s_cselect_b64 s[12:13], -1, 0
	s_or_b64 s[10:11], s[12:13], s[10:11]
	s_and_b64 vcc, exec, s[10:11]
	s_cbranch_vccz .LBB27_17
; %bb.4:
	s_sub_i32 s10, 0, s7
	s_bfe_u32 s10, s10, 0x20001
	s_min_i32 s10, s10, s17
	v_cmp_gt_i32_e32 vcc, s10, v0
	v_mov_b32_e32 v1, 0
	s_and_saveexec_b64 s[12:13], vcc
	s_cbranch_execz .LBB27_8
; %bb.5:
	s_add_u32 s11, s8, s0
	s_addc_u32 s14, s9, s1
	s_add_u32 s11, s2, s11
	v_lshlrev_b32_e32 v1, 1, v0
	s_addc_u32 s14, s3, s14
	s_mov_b32 s19, 0
	v_mov_b32_e32 v3, s14
	v_add_co_u32_e32 v2, vcc, s11, v1
	v_addc_co_u32_e32 v3, vcc, 0, v3, vcc
	s_lshl_b32 s11, s16, 1
	s_mov_b64 s[14:15], 0
	v_mov_b32_e32 v1, 0
	v_mov_b32_e32 v4, s19
	;; [unrolled: 1-line block ×3, first 2 shown]
.LBB27_6:                               ; =>This Inner Loop Header: Depth=1
	global_load_ushort v6, v[2:3], off
	v_add_co_u32_e32 v2, vcc, s11, v2
	v_add_u32_e32 v5, s16, v5
	v_addc_co_u32_e32 v3, vcc, v3, v4, vcc
	v_cmp_le_i32_e32 vcc, s10, v5
	s_or_b64 s[14:15], vcc, s[14:15]
	s_waitcnt vmcnt(0)
	v_lshlrev_b32_e32 v6, 16, v6
	v_fmac_f32_e32 v1, v6, v6
	s_andn2_b64 exec, exec, s[14:15]
	s_cbranch_execnz .LBB27_6
; %bb.7:
	s_or_b64 exec, exec, s[14:15]
.LBB27_8:
	s_or_b64 exec, exec, s[12:13]
	s_sub_i32 s19, s17, s10
	s_ashr_i32 s12, s19, 31
	s_lshr_b32 s12, s12, 30
	s_add_i32 s12, s19, s12
	s_ashr_i32 s20, s12, 2
	s_ashr_i32 s11, s10, 31
	v_cmp_gt_i32_e32 vcc, s20, v0
	s_and_saveexec_b64 s[12:13], vcc
	s_cbranch_execz .LBB27_12
; %bb.9:
	s_add_u32 s21, s8, s0
	s_addc_u32 s22, s9, s1
	s_lshl_b64 s[14:15], s[10:11], 1
	s_add_u32 s14, s2, s14
	s_addc_u32 s15, s3, s15
	s_add_u32 s14, s14, s21
	v_lshlrev_b32_e32 v2, 3, v0
	s_addc_u32 s15, s15, s22
	v_mov_b32_e32 v3, s15
	v_add_co_u32_e32 v2, vcc, s14, v2
	v_addc_co_u32_e32 v3, vcc, 0, v3, vcc
	s_mov_b32 s23, 0
	v_add_co_u32_e32 v2, vcc, 4, v2
	v_addc_co_u32_e32 v3, vcc, 0, v3, vcc
	s_lshl_b32 s21, s16, 3
	s_mov_b64 s[14:15], 0
	v_mov_b32_e32 v4, s23
	v_mov_b32_e32 v5, v0
.LBB27_10:                              ; =>This Inner Loop Header: Depth=1
	global_load_dwordx2 v[6:7], v[2:3], off offset:-4
	v_add_co_u32_e32 v2, vcc, s21, v2
	v_add_u32_e32 v5, s16, v5
	v_addc_co_u32_e32 v3, vcc, v3, v4, vcc
	v_cmp_le_i32_e32 vcc, s20, v5
	s_or_b64 s[14:15], vcc, s[14:15]
	s_waitcnt vmcnt(0)
	v_and_b32_e32 v9, 0xffff0000, v6
	v_lshlrev_b32_e32 v8, 16, v6
	v_and_b32_e32 v11, 0xffff0000, v7
	v_lshlrev_b32_e32 v10, 16, v7
	v_pk_mul_f32 v[6:7], v[8:9], v[8:9]
	v_add_f32_e32 v1, v1, v6
	v_pk_mul_f32 v[8:9], v[10:11], v[10:11]
	v_add_f32_e32 v1, v1, v7
	v_add_f32_e32 v1, v1, v8
	;; [unrolled: 1-line block ×3, first 2 shown]
	s_andn2_b64 exec, exec, s[14:15]
	s_cbranch_execnz .LBB27_10
; %bb.11:
	s_or_b64 exec, exec, s[14:15]
.LBB27_12:
	s_or_b64 exec, exec, s[12:13]
	v_lshl_add_u32 v2, s20, 2, v0
	v_cmp_gt_i32_e32 vcc, s19, v2
	s_and_saveexec_b64 s[12:13], vcc
	s_cbranch_execz .LBB27_16
; %bb.13:
	s_add_u32 s14, s8, s0
	s_addc_u32 s15, s9, s1
	s_lshl_b64 s[10:11], s[10:11], 1
	s_add_u32 s10, s14, s10
	s_addc_u32 s11, s15, s11
	v_ashrrev_i32_e32 v3, 31, v2
	s_add_u32 s10, s2, s10
	v_lshlrev_b64 v[4:5], 1, v[2:3]
	s_addc_u32 s11, s3, s11
	v_mov_b32_e32 v3, s11
	v_add_co_u32_e32 v4, vcc, s10, v4
	s_mov_b32 s15, 0
	v_addc_co_u32_e32 v5, vcc, v3, v5, vcc
	s_lshl_b32 s14, s16, 1
	s_mov_b64 s[10:11], 0
	v_mov_b32_e32 v3, s15
.LBB27_14:                              ; =>This Inner Loop Header: Depth=1
	global_load_ushort v6, v[4:5], off
	v_add_co_u32_e32 v4, vcc, s14, v4
	v_add_u32_e32 v2, s16, v2
	v_addc_co_u32_e32 v5, vcc, v5, v3, vcc
	v_cmp_le_i32_e32 vcc, s19, v2
	s_or_b64 s[10:11], vcc, s[10:11]
	s_waitcnt vmcnt(0)
	v_lshlrev_b32_e32 v6, 16, v6
	v_fmac_f32_e32 v1, v6, v6
	s_andn2_b64 exec, exec, s[10:11]
	s_cbranch_execnz .LBB27_14
; %bb.15:
	s_or_b64 exec, exec, s[10:11]
.LBB27_16:
	s_or_b64 exec, exec, s[12:13]
	s_branch .LBB27_23
.LBB27_17:
                                        ; implicit-def: $vgpr1
	s_cbranch_execz .LBB27_23
; %bb.18:
	s_ashr_i32 s12, s17, 2
	v_cmp_gt_i32_e32 vcc, s12, v0
	v_mov_b32_e32 v1, 0
	s_and_saveexec_b64 s[10:11], vcc
	s_cbranch_execz .LBB27_22
; %bb.19:
	s_add_u32 s0, s8, s0
	s_addc_u32 s1, s9, s1
	s_add_u32 s0, s2, s0
	v_lshlrev_b32_e32 v1, 3, v0
	s_addc_u32 s1, s3, s1
	s_mov_b32 s8, 0
	v_mov_b32_e32 v3, s1
	v_add_co_u32_e32 v2, vcc, s0, v1
	v_addc_co_u32_e32 v3, vcc, 0, v3, vcc
	s_lshl_b32 s2, s16, 3
	s_mov_b64 s[0:1], 0
	v_mov_b32_e32 v1, 0
	v_mov_b32_e32 v4, s8
	;; [unrolled: 1-line block ×3, first 2 shown]
.LBB27_20:                              ; =>This Inner Loop Header: Depth=1
	global_load_dwordx2 v[6:7], v[2:3], off
	v_add_co_u32_e32 v2, vcc, s2, v2
	v_add_u32_e32 v5, s16, v5
	v_addc_co_u32_e32 v3, vcc, v3, v4, vcc
	v_cmp_le_i32_e32 vcc, s12, v5
	s_or_b64 s[0:1], vcc, s[0:1]
	s_waitcnt vmcnt(0)
	v_lshlrev_b32_e32 v9, 16, v6
	v_and_b32_e32 v8, 0xffff0000, v6
	v_alignbit_b32 v6, v7, v6, 16
	v_fmac_f32_e32 v1, v9, v9
	v_and_b32_e32 v6, 0xffff0000, v6
	v_fmac_f32_e32 v1, v8, v8
	v_and_b32_e32 v7, 0xffff0000, v7
	v_fmac_f32_e32 v1, v6, v6
	v_fmac_f32_e32 v1, v7, v7
	s_andn2_b64 exec, exec, s[0:1]
	s_cbranch_execnz .LBB27_20
; %bb.21:
	s_or_b64 exec, exec, s[0:1]
.LBB27_22:
	s_or_b64 exec, exec, s[10:11]
.LBB27_23:
	v_mbcnt_lo_u32_b32 v2, -1, 0
	v_mbcnt_hi_u32_b32 v2, -1, v2
	v_and_b32_e32 v3, 63, v2
	v_cmp_ne_u32_e32 vcc, 63, v3
	v_addc_co_u32_e32 v4, vcc, 0, v2, vcc
	v_lshlrev_b32_e32 v4, 2, v4
	ds_bpermute_b32 v4, v4, v1
	v_and_b32_e32 v5, 0x3c0, v0
	v_sub_u32_e64 v5, s16, v5 clamp
	v_add_u32_e32 v6, 1, v2
	v_cmp_lt_u32_e32 vcc, v6, v5
	s_waitcnt lgkmcnt(0)
	v_add_f32_e32 v4, v1, v4
	v_cndmask_b32_e32 v1, v1, v4, vcc
	v_cmp_gt_u32_e32 vcc, 62, v3
	v_cndmask_b32_e64 v4, 0, 1, vcc
	v_lshlrev_b32_e32 v4, 1, v4
	v_add_lshl_u32 v4, v4, v2, 2
	ds_bpermute_b32 v4, v4, v1
	v_add_u32_e32 v6, 2, v2
	v_cmp_lt_u32_e32 vcc, v6, v5
	v_add_u32_e32 v6, 4, v2
	s_waitcnt lgkmcnt(0)
	v_add_f32_e32 v4, v1, v4
	v_cndmask_b32_e32 v1, v1, v4, vcc
	v_cmp_gt_u32_e32 vcc, 60, v3
	v_cndmask_b32_e64 v4, 0, 1, vcc
	v_lshlrev_b32_e32 v4, 2, v4
	v_add_lshl_u32 v4, v4, v2, 2
	ds_bpermute_b32 v4, v4, v1
	v_cmp_lt_u32_e32 vcc, v6, v5
	v_add_u32_e32 v6, 8, v2
	s_waitcnt lgkmcnt(0)
	v_add_f32_e32 v4, v1, v4
	v_cndmask_b32_e32 v1, v1, v4, vcc
	v_cmp_gt_u32_e32 vcc, 56, v3
	v_cndmask_b32_e64 v4, 0, 1, vcc
	v_lshlrev_b32_e32 v4, 3, v4
	v_add_lshl_u32 v4, v4, v2, 2
	ds_bpermute_b32 v4, v4, v1
	v_cmp_lt_u32_e32 vcc, v6, v5
	v_add_u32_e32 v6, 16, v2
	s_waitcnt lgkmcnt(0)
	v_add_f32_e32 v4, v1, v4
	v_cndmask_b32_e32 v1, v1, v4, vcc
	v_cmp_gt_u32_e32 vcc, 48, v3
	v_cndmask_b32_e64 v4, 0, 1, vcc
	v_lshlrev_b32_e32 v4, 4, v4
	v_add_lshl_u32 v4, v4, v2, 2
	ds_bpermute_b32 v4, v4, v1
	v_cmp_lt_u32_e32 vcc, v6, v5
	s_waitcnt lgkmcnt(0)
	v_add_f32_e32 v4, v1, v4
	v_cndmask_b32_e32 v1, v1, v4, vcc
	v_cmp_gt_u32_e32 vcc, 32, v3
	v_cndmask_b32_e64 v3, 0, 1, vcc
	v_lshlrev_b32_e32 v3, 5, v3
	v_add_lshl_u32 v3, v3, v2, 2
	ds_bpermute_b32 v3, v3, v1
	v_add_u32_e32 v4, 32, v2
	v_cmp_lt_u32_e32 vcc, v4, v5
	s_waitcnt lgkmcnt(0)
	v_add_f32_e32 v3, v1, v3
	v_cndmask_b32_e32 v1, v1, v3, vcc
	v_cmp_eq_u32_e32 vcc, 0, v2
	s_and_saveexec_b64 s[0:1], vcc
	s_cbranch_execz .LBB27_25
; %bb.24:
	v_lshrrev_b32_e32 v3, 4, v0
	v_and_b32_e32 v3, 60, v3
	ds_write_b32 v3, v1
.LBB27_25:
	s_or_b64 exec, exec, s[0:1]
	v_cmp_gt_u32_e32 vcc, 16, v0
	s_waitcnt lgkmcnt(0)
	s_barrier
	s_and_saveexec_b64 s[2:3], vcc
	s_cbranch_execz .LBB27_27
; %bb.26:
	v_lshlrev_b32_e32 v1, 2, v2
	ds_read_b32 v1, v1
	v_and_b32_e32 v3, 15, v2
	v_cmp_ne_u32_e32 vcc, 15, v3
	v_addc_co_u32_e32 v4, vcc, 0, v2, vcc
	v_lshlrev_b32_e32 v4, 2, v4
	s_waitcnt lgkmcnt(0)
	ds_bpermute_b32 v4, v4, v1
	s_add_i32 s0, s16, 63
	s_lshr_b32 s8, s0, 6
	v_add_u32_e32 v5, 1, v3
	v_cmp_gt_u32_e64 s[0:1], 14, v3
	v_cmp_gt_u32_e32 vcc, s8, v5
	v_cndmask_b32_e64 v5, 0, 1, s[0:1]
	s_waitcnt lgkmcnt(0)
	v_add_f32_e32 v4, v1, v4
	v_lshlrev_b32_e32 v5, 1, v5
	v_cndmask_b32_e32 v4, v1, v4, vcc
	v_add_lshl_u32 v5, v5, v2, 2
	ds_bpermute_b32 v5, v5, v4
	v_add_u32_e32 v6, 2, v3
	v_cmp_gt_u32_e64 s[0:1], s8, v6
	v_add_u32_e32 v6, 4, v3
	s_waitcnt lgkmcnt(0)
	v_add_f32_e32 v5, v4, v5
	v_cndmask_b32_e64 v4, v4, v5, s[0:1]
	v_cmp_gt_u32_e64 s[0:1], 12, v3
	v_cndmask_b32_e64 v5, 0, 1, s[0:1]
	v_lshlrev_b32_e32 v5, 2, v5
	v_add_lshl_u32 v5, v5, v2, 2
	ds_bpermute_b32 v5, v5, v4
	v_cmp_gt_u32_e64 s[0:1], s8, v6
	s_waitcnt lgkmcnt(0)
	v_add_f32_e32 v5, v4, v5
	v_cndmask_b32_e64 v4, v4, v5, s[0:1]
	v_cmp_gt_u32_e64 s[0:1], 8, v3
	v_cndmask_b32_e64 v5, 0, 1, s[0:1]
	v_lshlrev_b32_e32 v5, 3, v5
	v_add_lshl_u32 v2, v5, v2, 2
	ds_bpermute_b32 v2, v2, v4
	v_add_u32_e32 v3, 8, v3
	v_cmp_gt_u32_e64 s[0:1], s8, v3
	s_waitcnt lgkmcnt(0)
	v_add_f32_e32 v2, v4, v2
	v_cndmask_b32_e64 v2, v4, v2, s[0:1]
	v_cndmask_b32_e32 v1, v1, v2, vcc
.LBB27_27:
	s_or_b64 exec, exec, s[2:3]
	v_cmp_eq_u32_e32 vcc, 0, v0
	s_and_saveexec_b64 s[0:1], vcc
	s_cbranch_execz .LBB27_29
; %bb.28:
	v_cvt_f32_i32_e32 v2, s17
	s_load_dword s8, s[4:5], 0x40
	v_div_scale_f32 v3, s[2:3], v2, v2, v1
	v_rcp_f32_e32 v4, v3
	v_div_scale_f32 v5, vcc, v1, v2, v1
	s_mov_b32 s2, 0x800000
	v_fma_f32 v6, -v3, v4, 1.0
	v_fmac_f32_e32 v4, v6, v4
	v_mul_f32_e32 v6, v5, v4
	v_fma_f32 v7, -v3, v6, v5
	v_fmac_f32_e32 v6, v7, v4
	v_fma_f32 v3, -v3, v6, v5
	v_div_fmas_f32 v3, v3, v4, v6
	v_div_fixup_f32 v1, v3, v2, v1
	s_waitcnt lgkmcnt(0)
	v_add_f32_e32 v1, s8, v1
	v_mul_f32_e32 v2, 0x4b800000, v1
	v_cmp_gt_f32_e32 vcc, s2, v1
	v_cndmask_b32_e32 v1, v1, v2, vcc
	v_rsq_f32_e32 v1, v1
	v_mul_f32_e32 v2, 0x45800000, v1
	v_cndmask_b32_e32 v1, v1, v2, vcc
	v_mov_b32_e32 v2, 0
	ds_write_b32 v2, v1 offset:64
.LBB27_29:
	s_or_b64 exec, exec, s[0:1]
	s_ashr_i32 s0, s17, 31
	s_lshr_b32 s0, s0, 30
	s_add_i32 s0, s17, s0
	s_ashr_i32 s8, s0, 2
	v_cmp_gt_i32_e32 vcc, s8, v0
	s_waitcnt lgkmcnt(0)
	s_barrier
	s_and_saveexec_b64 s[0:1], vcc
	s_cbranch_execz .LBB27_32
; %bb.30:
	s_load_dwordx2 s[0:1], s[4:5], 0x0
	s_load_dwordx2 s[2:3], s[4:5], 0x38
	v_mov_b32_e32 v1, 0
	ds_read_b32 v2, v1 offset:64
	s_mul_i32 s10, s6, s17
	s_mov_b32 s11, 0
	s_lshl_b64 s[4:5], s[10:11], 1
	s_waitcnt lgkmcnt(0)
	s_add_u32 s6, s0, s4
	s_addc_u32 s0, s1, s5
	v_mov_b32_e32 v3, v2
	v_lshlrev_b32_e32 v4, 3, v0
	s_lshl_b32 s9, s16, 3
	s_mov_b64 s[4:5], 0
	v_mov_b32_e32 v5, s18
	v_mov_b32_e32 v10, s3
	;; [unrolled: 1-line block ×5, first 2 shown]
	s_movk_i32 s3, 0x7fff
	v_mov_b32_e32 v12, 0x7fc00000
	v_mov_b32_e32 v13, 0x7fc0
	;; [unrolled: 1-line block ×3, first 2 shown]
.LBB27_31:                              ; =>This Inner Loop Header: Depth=1
	v_add_co_u32_e32 v8, vcc, s7, v4
	v_addc_co_u32_e32 v9, vcc, v5, v1, vcc
	v_add_co_u32_e32 v16, vcc, s2, v4
	v_addc_co_u32_e32 v17, vcc, v10, v1, vcc
	global_load_dwordx2 v[18:19], v[8:9], off
	global_load_dwordx2 v[20:21], v[16:17], off
	v_add_co_u32_e32 v8, vcc, s6, v4
	v_addc_co_u32_e32 v9, vcc, v11, v1, vcc
	v_add_co_u32_e32 v4, vcc, s9, v4
	v_add_u32_e32 v0, s16, v0
	v_addc_co_u32_e32 v1, vcc, v1, v14, vcc
	v_cmp_le_i32_e32 vcc, s8, v0
	s_or_b64 s[4:5], vcc, s[4:5]
	s_waitcnt vmcnt(1)
	v_alignbit_b32 v15, v19, v18, 16
	v_and_b32_e32 v16, 0xffff0000, v18
	v_lshlrev_b32_e32 v17, 16, v18
	v_and_b32_e32 v22, 0xffff0000, v19
	v_and_b32_e32 v23, 0xffff0000, v15
	v_pk_mul_f32 v[16:17], v[6:7], v[16:17]
	s_waitcnt vmcnt(0)
	v_alignbit_b32 v25, v21, v20, 16
	v_and_b32_e32 v18, 0xffff0000, v20
	v_and_b32_e32 v24, 0xffff0000, v21
	v_lshlrev_b32_e32 v19, 16, v20
	v_pk_mul_f32 v[20:21], v[2:3], v[22:23]
	v_bfe_u32 v15, v16, 16, 1
	v_bfe_u32 v22, v17, 16, 1
	;; [unrolled: 1-line block ×4, first 2 shown]
	v_add3_u32 v22, v17, v22, s3
	v_add3_u32 v15, v16, v15, s3
	;; [unrolled: 1-line block ×4, first 2 shown]
	v_and_b32_e32 v15, 0xffff0000, v15
	v_and_b32_e32 v22, 0xffff0000, v22
	v_cmp_o_f32_e32 vcc, v16, v16
	v_cmp_o_f32_e64 s[0:1], v17, v17
	v_and_b32_e32 v23, 0xffff0000, v23
	v_and_b32_e32 v26, 0xffff0000, v26
	v_cndmask_b32_e64 v17, v12, v22, s[0:1]
	v_cndmask_b32_e32 v16, v12, v15, vcc
	v_cmp_o_f32_e32 vcc, v20, v20
	v_cmp_o_f32_e64 s[0:1], v21, v21
	v_and_b32_e32 v25, 0xffff0000, v25
	v_cndmask_b32_e64 v21, v12, v26, s[0:1]
	v_cndmask_b32_e32 v20, v12, v23, vcc
	v_pk_mul_f32 v[16:17], v[16:17], v[18:19]
	v_pk_mul_f32 v[18:19], v[20:21], v[24:25]
	v_bfe_u32 v15, v17, 16, 1
	v_bfe_u32 v20, v16, 16, 1
	v_add3_u32 v15, v17, v15, s3
	v_add3_u32 v20, v16, v20, s3
	v_bfe_u32 v21, v19, 16, 1
	v_bfe_u32 v22, v18, 16, 1
	v_lshrrev_b32_e32 v15, 16, v15
	v_and_b32_e32 v20, 0xffff0000, v20
	v_add3_u32 v22, v18, v22, s3
	v_add3_u32 v21, v19, v21, s3
	v_cmp_o_f32_e32 vcc, v17, v17
	v_cmp_o_f32_e64 s[0:1], v16, v16
	v_lshrrev_b32_e32 v16, 16, v21
	v_and_b32_e32 v17, 0xffff0000, v22
	v_cndmask_b32_e64 v20, v12, v20, s[0:1]
	v_cmp_o_f32_e64 s[0:1], v19, v19
	v_cndmask_b32_e32 v15, v13, v15, vcc
	v_cmp_o_f32_e32 vcc, v18, v18
	v_cndmask_b32_e32 v17, v12, v17, vcc
	v_cndmask_b32_e64 v18, v13, v16, s[0:1]
	v_or3_b32 v16, 0, v20, v15
	v_or3_b32 v17, v17, 0, v18
	global_store_dwordx2 v[8:9], v[16:17], off
	s_andn2_b64 exec, exec, s[4:5]
	s_cbranch_execnz .LBB27_31
.LBB27_32:
	s_endpgm
.LBB27_33:
                                        ; implicit-def: $sgpr0_sgpr1
	s_branch .LBB27_2
	.section	.rodata,"a",@progbits
	.p2align	6, 0x0
	.amdhsa_kernel _ZN4vllm15rms_norm_kernelIN3c108BFloat16ELi4ELi3EEEvPT_PKS3_lllllS6_fii
		.amdhsa_group_segment_fixed_size 68
		.amdhsa_private_segment_fixed_size 0
		.amdhsa_kernarg_size 336
		.amdhsa_user_sgpr_count 6
		.amdhsa_user_sgpr_private_segment_buffer 1
		.amdhsa_user_sgpr_dispatch_ptr 0
		.amdhsa_user_sgpr_queue_ptr 0
		.amdhsa_user_sgpr_kernarg_segment_ptr 1
		.amdhsa_user_sgpr_dispatch_id 0
		.amdhsa_user_sgpr_flat_scratch_init 0
		.amdhsa_user_sgpr_kernarg_preload_length 0
		.amdhsa_user_sgpr_kernarg_preload_offset 0
		.amdhsa_user_sgpr_private_segment_size 0
		.amdhsa_uses_dynamic_stack 0
		.amdhsa_system_sgpr_private_segment_wavefront_offset 0
		.amdhsa_system_sgpr_workgroup_id_x 1
		.amdhsa_system_sgpr_workgroup_id_y 0
		.amdhsa_system_sgpr_workgroup_id_z 0
		.amdhsa_system_sgpr_workgroup_info 0
		.amdhsa_system_vgpr_workitem_id 0
		.amdhsa_next_free_vgpr 27
		.amdhsa_next_free_sgpr 24
		.amdhsa_accum_offset 28
		.amdhsa_reserve_vcc 1
		.amdhsa_reserve_flat_scratch 0
		.amdhsa_float_round_mode_32 0
		.amdhsa_float_round_mode_16_64 0
		.amdhsa_float_denorm_mode_32 3
		.amdhsa_float_denorm_mode_16_64 3
		.amdhsa_dx10_clamp 1
		.amdhsa_ieee_mode 1
		.amdhsa_fp16_overflow 0
		.amdhsa_tg_split 0
		.amdhsa_exception_fp_ieee_invalid_op 0
		.amdhsa_exception_fp_denorm_src 0
		.amdhsa_exception_fp_ieee_div_zero 0
		.amdhsa_exception_fp_ieee_overflow 0
		.amdhsa_exception_fp_ieee_underflow 0
		.amdhsa_exception_fp_ieee_inexact 0
		.amdhsa_exception_int_div_zero 0
	.end_amdhsa_kernel
	.section	.text._ZN4vllm15rms_norm_kernelIN3c108BFloat16ELi4ELi3EEEvPT_PKS3_lllllS6_fii,"axG",@progbits,_ZN4vllm15rms_norm_kernelIN3c108BFloat16ELi4ELi3EEEvPT_PKS3_lllllS6_fii,comdat
.Lfunc_end27:
	.size	_ZN4vllm15rms_norm_kernelIN3c108BFloat16ELi4ELi3EEEvPT_PKS3_lllllS6_fii, .Lfunc_end27-_ZN4vllm15rms_norm_kernelIN3c108BFloat16ELi4ELi3EEEvPT_PKS3_lllllS6_fii
                                        ; -- End function
	.section	.AMDGPU.csdata,"",@progbits
; Kernel info:
; codeLenInByte = 2944
; NumSgprs: 28
; NumVgprs: 27
; NumAgprs: 0
; TotalNumVgprs: 27
; ScratchSize: 0
; MemoryBound: 0
; FloatMode: 240
; IeeeMode: 1
; LDSByteSize: 68 bytes/workgroup (compile time only)
; SGPRBlocks: 3
; VGPRBlocks: 3
; NumSGPRsForWavesPerEU: 28
; NumVGPRsForWavesPerEU: 27
; AccumOffset: 28
; Occupancy: 8
; WaveLimiterHint : 0
; COMPUTE_PGM_RSRC2:SCRATCH_EN: 0
; COMPUTE_PGM_RSRC2:USER_SGPR: 6
; COMPUTE_PGM_RSRC2:TRAP_HANDLER: 0
; COMPUTE_PGM_RSRC2:TGID_X_EN: 1
; COMPUTE_PGM_RSRC2:TGID_Y_EN: 0
; COMPUTE_PGM_RSRC2:TGID_Z_EN: 0
; COMPUTE_PGM_RSRC2:TIDIG_COMP_CNT: 0
; COMPUTE_PGM_RSRC3_GFX90A:ACCUM_OFFSET: 6
; COMPUTE_PGM_RSRC3_GFX90A:TG_SPLIT: 0
	.section	.text._ZN4vllm15rms_norm_kernelIN3c108BFloat16ELi2ELi3EEEvPT_PKS3_lllllS6_fii,"axG",@progbits,_ZN4vllm15rms_norm_kernelIN3c108BFloat16ELi2ELi3EEEvPT_PKS3_lllllS6_fii,comdat
	.protected	_ZN4vllm15rms_norm_kernelIN3c108BFloat16ELi2ELi3EEEvPT_PKS3_lllllS6_fii ; -- Begin function _ZN4vllm15rms_norm_kernelIN3c108BFloat16ELi2ELi3EEEvPT_PKS3_lllllS6_fii
	.globl	_ZN4vllm15rms_norm_kernelIN3c108BFloat16ELi2ELi3EEEvPT_PKS3_lllllS6_fii
	.p2align	8
	.type	_ZN4vllm15rms_norm_kernelIN3c108BFloat16ELi2ELi3EEEvPT_PKS3_lllllS6_fii,@function
_ZN4vllm15rms_norm_kernelIN3c108BFloat16ELi2ELi3EEEvPT_PKS3_lllllS6_fii: ; @_ZN4vllm15rms_norm_kernelIN3c108BFloat16ELi2ELi3EEEvPT_PKS3_lllllS6_fii
; %bb.0:
	s_load_dwordx2 s[8:9], s[4:5], 0x28
	s_load_dwordx2 s[2:3], s[4:5], 0x8
	s_mov_b32 s0, 0
	s_waitcnt lgkmcnt(0)
	s_mov_b32 s1, s9
	s_cmp_lg_u64 s[0:1], 0
	s_cbranch_scc0 .LBB28_32
; %bb.1:
	s_ashr_i32 s10, s9, 31
	s_add_u32 s0, s8, s10
	s_mov_b32 s11, s10
	s_addc_u32 s1, s9, s10
	s_xor_b64 s[14:15], s[0:1], s[10:11]
	v_cvt_f32_u32_e32 v1, s14
	v_cvt_f32_u32_e32 v2, s15
	s_sub_u32 s0, 0, s14
	s_subb_u32 s1, 0, s15
	v_madmk_f32 v1, v2, 0x4f800000, v1
	v_rcp_f32_e32 v1, v1
	v_mul_f32_e32 v1, 0x5f7ffffc, v1
	v_mul_f32_e32 v2, 0x2f800000, v1
	v_trunc_f32_e32 v2, v2
	v_madmk_f32 v1, v2, 0xcf800000, v1
	v_cvt_u32_f32_e32 v2, v2
	v_cvt_u32_f32_e32 v1, v1
	v_readfirstlane_b32 s7, v2
	v_readfirstlane_b32 s9, v1
	s_mul_i32 s16, s0, s7
	s_mul_hi_u32 s18, s0, s9
	s_mul_i32 s17, s1, s9
	s_add_i32 s16, s18, s16
	s_add_i32 s16, s16, s17
	s_mul_i32 s19, s0, s9
	s_mul_hi_u32 s17, s9, s16
	s_mul_i32 s18, s9, s16
	s_mul_hi_u32 s9, s9, s19
	s_add_u32 s9, s9, s18
	s_addc_u32 s17, 0, s17
	s_mul_hi_u32 s20, s7, s19
	s_mul_i32 s19, s7, s19
	s_add_u32 s9, s9, s19
	s_mul_hi_u32 s18, s7, s16
	s_addc_u32 s9, s17, s20
	s_addc_u32 s17, s18, 0
	s_mul_i32 s16, s7, s16
	s_add_u32 s9, s9, s16
	s_addc_u32 s16, 0, s17
	v_add_co_u32_e32 v1, vcc, s9, v1
	s_cmp_lg_u64 vcc, 0
	s_addc_u32 s7, s7, s16
	v_readfirstlane_b32 s16, v1
	s_mul_i32 s9, s0, s7
	s_mul_hi_u32 s17, s0, s16
	s_add_i32 s9, s17, s9
	s_mul_i32 s1, s1, s16
	s_add_i32 s9, s9, s1
	s_mul_i32 s0, s0, s16
	s_mul_hi_u32 s17, s7, s0
	s_mul_i32 s18, s7, s0
	s_mul_i32 s20, s16, s9
	s_mul_hi_u32 s0, s16, s0
	s_mul_hi_u32 s19, s16, s9
	s_add_u32 s0, s0, s20
	s_addc_u32 s16, 0, s19
	s_add_u32 s0, s0, s18
	s_mul_hi_u32 s1, s7, s9
	s_addc_u32 s0, s16, s17
	s_addc_u32 s1, s1, 0
	s_mul_i32 s9, s7, s9
	s_add_u32 s0, s0, s9
	s_addc_u32 s1, 0, s1
	v_add_co_u32_e32 v1, vcc, s0, v1
	s_cmp_lg_u64 vcc, 0
	s_addc_u32 s0, s7, s1
	v_readfirstlane_b32 s7, v1
	s_mul_hi_u32 s1, s6, s0
	s_mul_i32 s0, s6, s0
	s_mul_hi_u32 s7, s6, s7
	s_add_u32 s0, s7, s0
	s_addc_u32 s1, 0, s1
	s_add_u32 s0, s0, 0
	s_addc_u32 s0, s1, 0
	s_addc_u32 s1, 0, 0
	s_add_u32 s7, s0, 0
	s_addc_u32 s9, 0, s1
	s_mul_i32 s0, s14, s9
	s_mul_hi_u32 s1, s14, s7
	s_add_i32 s0, s1, s0
	s_mul_i32 s1, s15, s7
	s_add_i32 s16, s0, s1
	s_mul_i32 s1, s14, s7
	v_mov_b32_e32 v1, s1
	s_sub_i32 s0, 0, s16
	v_sub_co_u32_e32 v1, vcc, s6, v1
	s_cmp_lg_u64 vcc, 0
	s_subb_u32 s17, s0, s15
	v_subrev_co_u32_e64 v2, s[0:1], s14, v1
	s_cmp_lg_u64 s[0:1], 0
	s_subb_u32 s0, s17, 0
	s_cmp_ge_u32 s0, s15
	v_readfirstlane_b32 s17, v2
	s_cselect_b32 s1, -1, 0
	s_cmp_ge_u32 s17, s14
	s_cselect_b32 s17, -1, 0
	s_cmp_eq_u32 s0, s15
	s_cselect_b32 s0, s17, s1
	s_add_u32 s1, s7, 1
	s_addc_u32 s17, s9, 0
	s_add_u32 s18, s7, 2
	s_addc_u32 s19, s9, 0
	s_cmp_lg_u32 s0, 0
	s_cselect_b32 s0, s18, s1
	s_cselect_b32 s1, s19, s17
	s_cmp_lg_u64 vcc, 0
	s_subb_u32 s16, 0, s16
	s_cmp_ge_u32 s16, s15
	v_readfirstlane_b32 s18, v1
	s_cselect_b32 s17, -1, 0
	s_cmp_ge_u32 s18, s14
	s_cselect_b32 s14, -1, 0
	s_cmp_eq_u32 s16, s15
	s_cselect_b32 s14, s14, s17
	s_cmp_lg_u32 s14, 0
	s_cselect_b32 s1, s1, s9
	s_cselect_b32 s0, s0, s7
	s_xor_b64 s[0:1], s[0:1], s[10:11]
	s_sub_u32 s0, s0, s10
	s_subb_u32 s1, s1, s10
	s_cbranch_execnz .LBB28_3
.LBB28_2:
	v_cvt_f32_u32_e32 v1, s8
	s_sub_i32 s0, 0, s8
	s_mov_b32 s1, 0
	v_rcp_iflag_f32_e32 v1, v1
	v_mul_f32_e32 v1, 0x4f7ffffe, v1
	v_cvt_u32_f32_e32 v1, v1
	v_readfirstlane_b32 s7, v1
	s_mul_i32 s0, s0, s7
	s_mul_hi_u32 s0, s7, s0
	s_add_i32 s7, s7, s0
	s_mul_hi_u32 s0, s6, s7
	s_mul_i32 s9, s0, s8
	s_sub_i32 s9, s6, s9
	s_add_i32 s7, s0, 1
	s_sub_i32 s10, s9, s8
	s_cmp_ge_u32 s9, s8
	s_cselect_b32 s0, s7, s0
	s_cselect_b32 s9, s10, s9
	s_add_i32 s7, s0, 1
	s_cmp_ge_u32 s9, s8
	s_cselect_b32 s0, s7, s0
.LBB28_3:
	s_mul_i32 s7, s0, s8
	s_load_dwordx4 s[8:11], s[4:5], 0x10
	s_bfe_i64 s[12:13], s[0:1], 0x200000
	s_sub_i32 s14, s6, s7
	s_load_dword s7, s[4:5], 0x48
	s_load_dword s12, s[4:5], 0x5c
	s_waitcnt lgkmcnt(0)
	s_mul_i32 s1, s0, s11
	s_mul_hi_u32 s11, s0, s10
	s_add_i32 s1, s11, s1
	s_mul_i32 s11, s13, s10
	s_add_i32 s1, s1, s11
	s_mul_i32 s0, s0, s10
	s_lshl_b64 s[0:1], s[0:1], 1
	s_add_u32 s13, s2, s0
	s_addc_u32 s15, s3, s1
	s_ashr_i32 s10, s14, 31
	s_mul_i32 s9, s14, s9
	s_mul_hi_u32 s11, s14, s8
	s_add_i32 s9, s11, s9
	s_mul_i32 s10, s10, s8
	s_add_i32 s9, s9, s10
	s_mul_i32 s8, s14, s8
	s_lshl_b64 s[10:11], s[8:9], 1
	s_add_u32 s8, s13, s10
	s_addc_u32 s9, s15, s11
	s_and_b32 s18, s12, 0xffff
	s_and_b32 s12, s8, 3
	s_mov_b32 s13, 0
	s_cmp_lg_u64 s[12:13], 0
	s_cselect_b64 s[12:13], -1, 0
	s_bitcmp1_b32 s7, 0
	s_cselect_b64 s[14:15], -1, 0
	s_or_b64 s[12:13], s[14:15], s[12:13]
	s_and_b64 vcc, exec, s[12:13]
	s_cbranch_vccz .LBB28_16
; %bb.4:
	s_sub_i32 s12, 0, s8
	s_bfe_u32 s12, s12, 0x10001
	s_min_i32 s12, s12, s7
	v_cmp_gt_i32_e32 vcc, s12, v0
	v_mov_b32_e32 v1, 0
	s_and_saveexec_b64 s[14:15], vcc
	s_cbranch_execz .LBB28_7
; %bb.5:
	s_lshl_b32 s13, s18, 1
	s_mov_b32 s19, 0
	v_mov_b32_e32 v2, 0
	s_mov_b64 s[16:17], s[8:9]
	v_mov_b32_e32 v1, 0
.LBB28_6:                               ; =>This Inner Loop Header: Depth=1
	global_load_ushort v3, v2, s[16:17]
	s_add_i32 s19, s19, s18
	s_add_u32 s16, s16, s13
	s_addc_u32 s17, s17, 0
	s_cmp_ge_i32 s19, s12
	s_waitcnt vmcnt(0)
	v_lshlrev_b32_e32 v3, 16, v3
	v_fmac_f32_e32 v1, v3, v3
	s_cbranch_scc0 .LBB28_6
.LBB28_7:
	s_or_b64 exec, exec, s[14:15]
	s_sub_i32 s19, s7, s12
	s_lshr_b32 s14, s19, 31
	s_add_i32 s14, s19, s14
	s_ashr_i32 s20, s14, 1
	s_ashr_i32 s13, s12, 31
	v_cmp_gt_i32_e32 vcc, s20, v0
	s_and_saveexec_b64 s[14:15], vcc
	s_cbranch_execz .LBB28_11
; %bb.8:
	s_add_u32 s21, s10, s0
	s_addc_u32 s22, s11, s1
	s_lshl_b64 s[16:17], s[12:13], 1
	s_add_u32 s16, s2, s16
	s_addc_u32 s17, s3, s17
	s_add_u32 s16, s16, s21
	v_lshlrev_b32_e32 v2, 2, v0
	s_addc_u32 s17, s17, s22
	s_mov_b32 s23, 0
	v_mov_b32_e32 v3, s17
	v_add_co_u32_e32 v2, vcc, s16, v2
	v_addc_co_u32_e32 v3, vcc, 0, v3, vcc
	s_lshl_b32 s21, s18, 2
	s_mov_b64 s[16:17], 0
	v_mov_b32_e32 v4, s23
	v_mov_b32_e32 v5, v0
.LBB28_9:                               ; =>This Inner Loop Header: Depth=1
	global_load_dword v6, v[2:3], off
	v_add_co_u32_e32 v2, vcc, s21, v2
	v_add_u32_e32 v5, s18, v5
	v_addc_co_u32_e32 v3, vcc, v3, v4, vcc
	v_cmp_le_i32_e32 vcc, s20, v5
	s_or_b64 s[16:17], vcc, s[16:17]
	s_waitcnt vmcnt(0)
	v_and_b32_e32 v7, 0xffff0000, v6
	v_lshlrev_b32_e32 v6, 16, v6
	v_pk_mul_f32 v[6:7], v[6:7], v[6:7]
	v_add_f32_e32 v1, v1, v6
	v_add_f32_e32 v1, v1, v7
	s_andn2_b64 exec, exec, s[16:17]
	s_cbranch_execnz .LBB28_9
; %bb.10:
	s_or_b64 exec, exec, s[16:17]
.LBB28_11:
	s_or_b64 exec, exec, s[14:15]
	v_lshl_add_u32 v2, s20, 1, v0
	v_cmp_gt_i32_e32 vcc, s19, v2
	s_and_saveexec_b64 s[14:15], vcc
	s_cbranch_execz .LBB28_15
; %bb.12:
	s_add_u32 s16, s10, s0
	s_addc_u32 s17, s11, s1
	s_lshl_b64 s[12:13], s[12:13], 1
	s_add_u32 s12, s16, s12
	s_addc_u32 s13, s17, s13
	v_ashrrev_i32_e32 v3, 31, v2
	s_add_u32 s12, s2, s12
	v_lshlrev_b64 v[4:5], 1, v[2:3]
	s_addc_u32 s13, s3, s13
	v_mov_b32_e32 v3, s13
	v_add_co_u32_e32 v4, vcc, s12, v4
	s_mov_b32 s17, 0
	v_addc_co_u32_e32 v5, vcc, v3, v5, vcc
	s_lshl_b32 s16, s18, 1
	s_mov_b64 s[12:13], 0
	v_mov_b32_e32 v3, s17
.LBB28_13:                              ; =>This Inner Loop Header: Depth=1
	global_load_ushort v6, v[4:5], off
	v_add_co_u32_e32 v4, vcc, s16, v4
	v_add_u32_e32 v2, s18, v2
	v_addc_co_u32_e32 v5, vcc, v5, v3, vcc
	v_cmp_le_i32_e32 vcc, s19, v2
	s_or_b64 s[12:13], vcc, s[12:13]
	s_waitcnt vmcnt(0)
	v_lshlrev_b32_e32 v6, 16, v6
	v_fmac_f32_e32 v1, v6, v6
	s_andn2_b64 exec, exec, s[12:13]
	s_cbranch_execnz .LBB28_13
; %bb.14:
	s_or_b64 exec, exec, s[12:13]
.LBB28_15:
	s_or_b64 exec, exec, s[14:15]
	s_branch .LBB28_22
.LBB28_16:
                                        ; implicit-def: $vgpr1
	s_cbranch_execz .LBB28_22
; %bb.17:
	s_ashr_i32 s14, s7, 1
	v_cmp_gt_i32_e32 vcc, s14, v0
	v_mov_b32_e32 v1, 0
	s_and_saveexec_b64 s[12:13], vcc
	s_cbranch_execz .LBB28_21
; %bb.18:
	s_add_u32 s0, s10, s0
	s_addc_u32 s1, s11, s1
	s_add_u32 s0, s2, s0
	v_lshlrev_b32_e32 v1, 2, v0
	s_addc_u32 s1, s3, s1
	s_mov_b32 s10, 0
	v_mov_b32_e32 v3, s1
	v_add_co_u32_e32 v2, vcc, s0, v1
	v_addc_co_u32_e32 v3, vcc, 0, v3, vcc
	s_lshl_b32 s2, s18, 2
	s_mov_b64 s[0:1], 0
	v_mov_b32_e32 v1, 0
	v_mov_b32_e32 v4, s10
	;; [unrolled: 1-line block ×3, first 2 shown]
.LBB28_19:                              ; =>This Inner Loop Header: Depth=1
	global_load_dword v7, v[2:3], off
	v_add_co_u32_e32 v2, vcc, s2, v2
	v_add_u32_e32 v5, s18, v5
	v_addc_co_u32_e32 v3, vcc, v3, v4, vcc
	v_cmp_le_i32_e32 vcc, s14, v5
	s_or_b64 s[0:1], vcc, s[0:1]
	s_waitcnt vmcnt(0)
	v_and_b32_e32 v6, 0xffff0000, v7
	v_lshlrev_b32_e32 v7, 16, v7
	v_pk_mul_f32 v[6:7], v[6:7], v[6:7]
	v_add_f32_e32 v1, v1, v7
	v_add_f32_e32 v1, v6, v1
	s_andn2_b64 exec, exec, s[0:1]
	s_cbranch_execnz .LBB28_19
; %bb.20:
	s_or_b64 exec, exec, s[0:1]
.LBB28_21:
	s_or_b64 exec, exec, s[12:13]
.LBB28_22:
	v_mbcnt_lo_u32_b32 v2, -1, 0
	v_mbcnt_hi_u32_b32 v2, -1, v2
	v_and_b32_e32 v3, 63, v2
	v_cmp_ne_u32_e32 vcc, 63, v3
	v_addc_co_u32_e32 v4, vcc, 0, v2, vcc
	v_lshlrev_b32_e32 v4, 2, v4
	ds_bpermute_b32 v4, v4, v1
	v_and_b32_e32 v5, 0x3c0, v0
	v_sub_u32_e64 v5, s18, v5 clamp
	v_add_u32_e32 v6, 1, v2
	v_cmp_lt_u32_e32 vcc, v6, v5
	s_waitcnt lgkmcnt(0)
	v_add_f32_e32 v4, v1, v4
	v_cndmask_b32_e32 v1, v1, v4, vcc
	v_cmp_gt_u32_e32 vcc, 62, v3
	v_cndmask_b32_e64 v4, 0, 1, vcc
	v_lshlrev_b32_e32 v4, 1, v4
	v_add_lshl_u32 v4, v4, v2, 2
	ds_bpermute_b32 v4, v4, v1
	v_add_u32_e32 v6, 2, v2
	v_cmp_lt_u32_e32 vcc, v6, v5
	v_add_u32_e32 v6, 4, v2
	s_waitcnt lgkmcnt(0)
	v_add_f32_e32 v4, v1, v4
	v_cndmask_b32_e32 v1, v1, v4, vcc
	v_cmp_gt_u32_e32 vcc, 60, v3
	v_cndmask_b32_e64 v4, 0, 1, vcc
	v_lshlrev_b32_e32 v4, 2, v4
	v_add_lshl_u32 v4, v4, v2, 2
	ds_bpermute_b32 v4, v4, v1
	v_cmp_lt_u32_e32 vcc, v6, v5
	v_add_u32_e32 v6, 8, v2
	s_waitcnt lgkmcnt(0)
	v_add_f32_e32 v4, v1, v4
	v_cndmask_b32_e32 v1, v1, v4, vcc
	v_cmp_gt_u32_e32 vcc, 56, v3
	v_cndmask_b32_e64 v4, 0, 1, vcc
	v_lshlrev_b32_e32 v4, 3, v4
	v_add_lshl_u32 v4, v4, v2, 2
	ds_bpermute_b32 v4, v4, v1
	;; [unrolled: 10-line block ×3, first 2 shown]
	v_cmp_lt_u32_e32 vcc, v6, v5
	s_waitcnt lgkmcnt(0)
	v_add_f32_e32 v4, v1, v4
	v_cndmask_b32_e32 v1, v1, v4, vcc
	v_cmp_gt_u32_e32 vcc, 32, v3
	v_cndmask_b32_e64 v3, 0, 1, vcc
	v_lshlrev_b32_e32 v3, 5, v3
	v_add_lshl_u32 v3, v3, v2, 2
	ds_bpermute_b32 v3, v3, v1
	v_add_u32_e32 v4, 32, v2
	v_cmp_lt_u32_e32 vcc, v4, v5
	s_waitcnt lgkmcnt(0)
	v_add_f32_e32 v3, v1, v3
	v_cndmask_b32_e32 v1, v1, v3, vcc
	v_cmp_eq_u32_e32 vcc, 0, v2
	s_and_saveexec_b64 s[0:1], vcc
	s_cbranch_execz .LBB28_24
; %bb.23:
	v_lshrrev_b32_e32 v3, 4, v0
	v_and_b32_e32 v3, 60, v3
	ds_write_b32 v3, v1
.LBB28_24:
	s_or_b64 exec, exec, s[0:1]
	v_cmp_gt_u32_e32 vcc, 16, v0
	s_waitcnt lgkmcnt(0)
	s_barrier
	s_and_saveexec_b64 s[2:3], vcc
	s_cbranch_execz .LBB28_26
; %bb.25:
	v_lshlrev_b32_e32 v1, 2, v2
	ds_read_b32 v1, v1
	v_and_b32_e32 v3, 15, v2
	v_cmp_ne_u32_e32 vcc, 15, v3
	v_addc_co_u32_e32 v4, vcc, 0, v2, vcc
	v_lshlrev_b32_e32 v4, 2, v4
	s_waitcnt lgkmcnt(0)
	ds_bpermute_b32 v4, v4, v1
	s_add_i32 s0, s18, 63
	s_lshr_b32 s10, s0, 6
	v_add_u32_e32 v5, 1, v3
	v_cmp_gt_u32_e64 s[0:1], 14, v3
	v_cmp_gt_u32_e32 vcc, s10, v5
	v_cndmask_b32_e64 v5, 0, 1, s[0:1]
	s_waitcnt lgkmcnt(0)
	v_add_f32_e32 v4, v1, v4
	v_lshlrev_b32_e32 v5, 1, v5
	v_cndmask_b32_e32 v4, v1, v4, vcc
	v_add_lshl_u32 v5, v5, v2, 2
	ds_bpermute_b32 v5, v5, v4
	v_add_u32_e32 v6, 2, v3
	v_cmp_gt_u32_e64 s[0:1], s10, v6
	v_add_u32_e32 v6, 4, v3
	s_waitcnt lgkmcnt(0)
	v_add_f32_e32 v5, v4, v5
	v_cndmask_b32_e64 v4, v4, v5, s[0:1]
	v_cmp_gt_u32_e64 s[0:1], 12, v3
	v_cndmask_b32_e64 v5, 0, 1, s[0:1]
	v_lshlrev_b32_e32 v5, 2, v5
	v_add_lshl_u32 v5, v5, v2, 2
	ds_bpermute_b32 v5, v5, v4
	v_cmp_gt_u32_e64 s[0:1], s10, v6
	s_waitcnt lgkmcnt(0)
	v_add_f32_e32 v5, v4, v5
	v_cndmask_b32_e64 v4, v4, v5, s[0:1]
	v_cmp_gt_u32_e64 s[0:1], 8, v3
	v_cndmask_b32_e64 v5, 0, 1, s[0:1]
	v_lshlrev_b32_e32 v5, 3, v5
	v_add_lshl_u32 v2, v5, v2, 2
	ds_bpermute_b32 v2, v2, v4
	v_add_u32_e32 v3, 8, v3
	v_cmp_gt_u32_e64 s[0:1], s10, v3
	s_waitcnt lgkmcnt(0)
	v_add_f32_e32 v2, v4, v2
	v_cndmask_b32_e64 v2, v4, v2, s[0:1]
	v_cndmask_b32_e32 v1, v1, v2, vcc
.LBB28_26:
	s_or_b64 exec, exec, s[2:3]
	v_cmp_eq_u32_e32 vcc, 0, v0
	s_and_saveexec_b64 s[0:1], vcc
	s_cbranch_execz .LBB28_28
; %bb.27:
	v_cvt_f32_i32_e32 v2, s7
	s_load_dword s10, s[4:5], 0x40
	v_div_scale_f32 v3, s[2:3], v2, v2, v1
	v_rcp_f32_e32 v4, v3
	v_div_scale_f32 v5, vcc, v1, v2, v1
	s_mov_b32 s2, 0x800000
	v_fma_f32 v6, -v3, v4, 1.0
	v_fmac_f32_e32 v4, v6, v4
	v_mul_f32_e32 v6, v5, v4
	v_fma_f32 v7, -v3, v6, v5
	v_fmac_f32_e32 v6, v7, v4
	v_fma_f32 v3, -v3, v6, v5
	v_div_fmas_f32 v3, v3, v4, v6
	v_div_fixup_f32 v1, v3, v2, v1
	s_waitcnt lgkmcnt(0)
	v_add_f32_e32 v1, s10, v1
	v_mul_f32_e32 v2, 0x4b800000, v1
	v_cmp_gt_f32_e32 vcc, s2, v1
	v_cndmask_b32_e32 v1, v1, v2, vcc
	v_rsq_f32_e32 v1, v1
	v_mul_f32_e32 v2, 0x45800000, v1
	v_cndmask_b32_e32 v1, v1, v2, vcc
	v_mov_b32_e32 v2, 0
	ds_write_b32 v2, v1 offset:64
.LBB28_28:
	s_or_b64 exec, exec, s[0:1]
	s_lshr_b32 s0, s7, 31
	s_add_i32 s0, s7, s0
	s_ashr_i32 s16, s0, 1
	v_cmp_gt_i32_e32 vcc, s16, v0
	s_waitcnt lgkmcnt(0)
	s_barrier
	s_and_saveexec_b64 s[0:1], vcc
	s_cbranch_execz .LBB28_39
; %bb.29:
	v_cvt_f32_u32_e32 v1, s18
	s_load_dwordx2 s[0:1], s[4:5], 0x0
	s_load_dwordx2 s[10:11], s[4:5], 0x38
	s_mul_i32 s2, s6, s7
	s_mov_b32 s3, 0
	v_rcp_iflag_f32_e32 v1, v1
	s_lshl_b64 s[2:3], s[2:3], 1
	v_add_u32_e32 v3, s18, v0
	s_waitcnt lgkmcnt(0)
	s_add_u32 s17, s0, s2
	v_mul_f32_e32 v1, 0x4f7ffffe, v1
	v_cvt_u32_f32_e32 v1, v1
	v_mov_b32_e32 v5, s18
	v_cmp_gt_i32_e32 vcc, s16, v3
	s_addc_u32 s19, s1, s3
	v_max_i32_e32 v4, s16, v3
	v_addc_co_u32_e64 v3, s[0:1], v0, v5, vcc
	s_sub_i32 s0, 0, s18
	v_sub_u32_e32 v3, v4, v3
	v_mul_lo_u32 v4, s0, v1
	v_mul_hi_u32 v4, v1, v4
	v_add_u32_e32 v1, v1, v4
	v_mul_hi_u32 v1, v3, v1
	v_mul_lo_u32 v4, v1, s18
	v_sub_u32_e32 v3, v3, v4
	v_add_u32_e32 v4, 1, v1
	v_cmp_le_u32_e64 s[0:1], s18, v3
	v_cndmask_b32_e64 v1, v1, v4, s[0:1]
	v_subrev_u32_e32 v4, s18, v3
	v_mov_b32_e32 v2, 0
	v_cndmask_b32_e64 v3, v3, v4, s[0:1]
	ds_read_b32 v2, v2 offset:64
	v_add_u32_e32 v4, 1, v1
	v_cmp_le_u32_e64 s[0:1], s18, v3
	v_cndmask_b32_e64 v1, v1, v4, s[0:1]
	v_addc_co_u32_e32 v1, vcc, 1, v1, vcc
	s_cmp_lg_u32 s18, 1
	v_cmp_gt_u32_e32 vcc, 2, v1
	s_cselect_b64 s[0:1], -1, 0
	s_or_b64 s[0:1], vcc, s[0:1]
	s_mov_b64 s[6:7], 0
	s_and_saveexec_b64 s[2:3], s[0:1]
	s_xor_b64 s[0:1], exec, s[2:3]
	s_cbranch_execnz .LBB28_33
; %bb.30:
	s_andn2_saveexec_b64 s[12:13], s[0:1]
	s_cbranch_execnz .LBB28_34
.LBB28_31:
	s_or_b64 exec, exec, s[12:13]
	s_and_b64 exec, exec, s[6:7]
	s_cbranch_execnz .LBB28_37
	s_branch .LBB28_39
.LBB28_32:
                                        ; implicit-def: $sgpr0_sgpr1
	s_branch .LBB28_2
.LBB28_33:
	s_mov_b64 s[6:7], exec
                                        ; implicit-def: $vgpr1
	s_andn2_saveexec_b64 s[12:13], s[0:1]
	s_cbranch_execz .LBB28_31
.LBB28_34:
	v_and_b32_e32 v6, -2, v1
	s_waitcnt lgkmcnt(0)
	v_mov_b32_e32 v3, v2
	s_mov_b64 s[14:15], 0
	v_mov_b32_e32 v5, 0
	v_mov_b32_e32 v7, s9
	;; [unrolled: 1-line block ×3, first 2 shown]
	s_movk_i32 s20, 0x7fff
	v_mov_b32_e32 v9, 0x7fc00000
	v_mov_b32_e32 v10, s19
	;; [unrolled: 1-line block ×5, first 2 shown]
.LBB28_35:                              ; =>This Inner Loop Header: Depth=1
	v_lshlrev_b64 v[14:15], 2, v[4:5]
	v_add_co_u32_e32 v16, vcc, s8, v14
	v_addc_co_u32_e32 v17, vcc, v7, v15, vcc
	v_add_co_u32_e32 v18, vcc, s10, v14
	v_addc_co_u32_e32 v19, vcc, v8, v15, vcc
	global_load_dwordx2 v[20:21], v[16:17], off
	global_load_dwordx2 v[22:23], v[18:19], off
	v_add_co_u32_e32 v14, vcc, s17, v14
	v_add_u32_e32 v12, -2, v12
	v_addc_co_u32_e32 v15, vcc, v10, v15, vcc
	v_cmp_eq_u32_e32 vcc, 0, v12
	s_or_b64 s[14:15], vcc, s[14:15]
	v_add_u32_e32 v4, 2, v4
	s_waitcnt vmcnt(1)
	v_and_b32_e32 v17, 0xffff0000, v21
	v_and_b32_e32 v16, 0xffff0000, v20
	v_lshlrev_b32_e32 v21, 16, v21
	v_lshlrev_b32_e32 v20, 16, v20
	v_pk_mul_f32 v[20:21], v[2:3], v[20:21]
	v_pk_mul_f32 v[16:17], v[2:3], v[16:17]
	v_bfe_u32 v13, v20, 16, 1
	v_bfe_u32 v24, v21, 16, 1
	;; [unrolled: 1-line block ×4, first 2 shown]
	v_add3_u32 v24, v21, v24, s20
	v_add3_u32 v13, v20, v13, s20
	;; [unrolled: 1-line block ×4, first 2 shown]
	v_and_b32_e32 v13, 0xffff0000, v13
	v_and_b32_e32 v24, 0xffff0000, v24
	v_cmp_o_f32_e32 vcc, v20, v20
	v_and_b32_e32 v20, 0xffff0000, v25
	v_and_b32_e32 v25, 0xffff0000, v26
	v_cmp_o_f32_e64 s[0:1], v17, v17
	v_cmp_o_f32_e64 s[2:3], v16, v16
	;; [unrolled: 1-line block ×3, first 2 shown]
	s_waitcnt vmcnt(0)
	v_and_b32_e32 v19, 0xffff0000, v23
	v_and_b32_e32 v18, 0xffff0000, v22
	v_lshlrev_b32_e32 v23, 16, v23
	v_lshlrev_b32_e32 v22, 16, v22
	v_cndmask_b32_e64 v17, v9, v24, s[4:5]
	v_cndmask_b32_e32 v16, v9, v13, vcc
	v_cndmask_b32_e64 v21, v9, v25, s[0:1]
	v_cndmask_b32_e64 v20, v9, v20, s[2:3]
	v_pk_mul_f32 v[16:17], v[16:17], v[22:23]
	v_pk_mul_f32 v[18:19], v[20:21], v[18:19]
	v_bfe_u32 v13, v17, 16, 1
	v_bfe_u32 v20, v16, 16, 1
	;; [unrolled: 1-line block ×4, first 2 shown]
	v_add3_u32 v20, v16, v20, s20
	v_add3_u32 v13, v17, v13, s20
	;; [unrolled: 1-line block ×4, first 2 shown]
	v_lshrrev_b32_e32 v13, 16, v13
	v_lshrrev_b32_e32 v20, 16, v20
	v_and_b32_e32 v21, 0xffff0000, v21
	v_and_b32_e32 v22, 0xffff0000, v22
	v_cmp_o_f32_e32 vcc, v19, v19
	v_cmp_o_f32_e64 s[0:1], v16, v16
	v_cmp_o_f32_e64 s[2:3], v17, v17
	;; [unrolled: 1-line block ×3, first 2 shown]
	v_cndmask_b32_e64 v16, v9, v22, s[4:5]
	v_cndmask_b32_e32 v17, v9, v21, vcc
	v_cndmask_b32_e64 v18, v11, v20, s[0:1]
	v_cndmask_b32_e64 v13, v11, v13, s[2:3]
	v_or_b32_e32 v17, v17, v13
	v_or_b32_e32 v16, v16, v18
	global_store_dwordx2 v[14:15], v[16:17], off
	s_andn2_b64 exec, exec, s[14:15]
	s_cbranch_execnz .LBB28_35
; %bb.36:
	s_or_b64 exec, exec, s[14:15]
	v_cmp_ne_u32_e32 vcc, v1, v6
	s_andn2_b64 s[0:1], s[6:7], exec
	s_and_b64 s[2:3], vcc, exec
	v_add_u32_e32 v0, v0, v6
	s_or_b64 s[6:7], s[0:1], s[2:3]
	s_or_b64 exec, exec, s[12:13]
	s_and_b64 exec, exec, s[6:7]
	s_cbranch_execz .LBB28_39
.LBB28_37:
	s_mov_b32 s0, 0
	v_mov_b32_e32 v1, 0
	s_waitcnt lgkmcnt(0)
	v_mov_b32_e32 v3, v2
	v_lshlrev_b64 v[4:5], 2, v[0:1]
	s_lshl_b32 s4, s18, 2
	s_mov_b64 s[2:3], 0
	v_mov_b32_e32 v1, s9
	v_mov_b32_e32 v6, s11
	;; [unrolled: 1-line block ×3, first 2 shown]
	s_movk_i32 s5, 0x7fff
	v_mov_b32_e32 v8, 0x7fc00000
	v_mov_b32_e32 v9, 0x7fc0
	;; [unrolled: 1-line block ×3, first 2 shown]
.LBB28_38:                              ; =>This Inner Loop Header: Depth=1
	v_add_co_u32_e32 v12, vcc, s8, v4
	v_addc_co_u32_e32 v13, vcc, v1, v5, vcc
	v_add_co_u32_e32 v14, vcc, s10, v4
	v_addc_co_u32_e32 v15, vcc, v6, v5, vcc
	global_load_dword v11, v[12:13], off
	global_load_dword v17, v[14:15], off
	v_add_co_u32_e32 v12, vcc, s17, v4
	v_addc_co_u32_e32 v13, vcc, v7, v5, vcc
	v_add_co_u32_e32 v4, vcc, s4, v4
	v_add_u32_e32 v0, s18, v0
	v_addc_co_u32_e32 v5, vcc, v5, v10, vcc
	v_cmp_le_i32_e32 vcc, s16, v0
	s_or_b64 s[2:3], vcc, s[2:3]
	s_waitcnt vmcnt(1)
	v_and_b32_e32 v14, 0xffff0000, v11
	v_lshlrev_b32_e32 v15, 16, v11
	v_pk_mul_f32 v[14:15], v[2:3], v[14:15]
	v_bfe_u32 v11, v14, 16, 1
	v_bfe_u32 v18, v15, 16, 1
	v_add3_u32 v18, v15, v18, s5
	v_add3_u32 v11, v14, v11, s5
	v_and_b32_e32 v11, 0xffff0000, v11
	v_and_b32_e32 v18, 0xffff0000, v18
	v_cmp_o_f32_e32 vcc, v14, v14
	v_cmp_o_f32_e64 s[0:1], v15, v15
	s_waitcnt vmcnt(0)
	v_and_b32_e32 v16, 0xffff0000, v17
	v_lshlrev_b32_e32 v17, 16, v17
	v_cndmask_b32_e64 v15, v8, v18, s[0:1]
	v_cndmask_b32_e32 v14, v8, v11, vcc
	v_pk_mul_f32 v[14:15], v[14:15], v[16:17]
	v_bfe_u32 v11, v14, 16, 1
	v_bfe_u32 v16, v15, 16, 1
	v_add3_u32 v16, v15, v16, s5
	v_add3_u32 v11, v14, v11, s5
	v_and_b32_e32 v11, 0xffff0000, v11
	v_lshrrev_b32_e32 v16, 16, v16
	v_cmp_o_f32_e32 vcc, v14, v14
	v_cmp_o_f32_e64 s[0:1], v15, v15
	v_cndmask_b32_e64 v14, v9, v16, s[0:1]
	v_cndmask_b32_e32 v11, v8, v11, vcc
	v_or_b32_e32 v11, v11, v14
	global_store_dword v[12:13], v11, off
	s_andn2_b64 exec, exec, s[2:3]
	s_cbranch_execnz .LBB28_38
.LBB28_39:
	s_endpgm
	.section	.rodata,"a",@progbits
	.p2align	6, 0x0
	.amdhsa_kernel _ZN4vllm15rms_norm_kernelIN3c108BFloat16ELi2ELi3EEEvPT_PKS3_lllllS6_fii
		.amdhsa_group_segment_fixed_size 68
		.amdhsa_private_segment_fixed_size 0
		.amdhsa_kernarg_size 336
		.amdhsa_user_sgpr_count 6
		.amdhsa_user_sgpr_private_segment_buffer 1
		.amdhsa_user_sgpr_dispatch_ptr 0
		.amdhsa_user_sgpr_queue_ptr 0
		.amdhsa_user_sgpr_kernarg_segment_ptr 1
		.amdhsa_user_sgpr_dispatch_id 0
		.amdhsa_user_sgpr_flat_scratch_init 0
		.amdhsa_user_sgpr_kernarg_preload_length 0
		.amdhsa_user_sgpr_kernarg_preload_offset 0
		.amdhsa_user_sgpr_private_segment_size 0
		.amdhsa_uses_dynamic_stack 0
		.amdhsa_system_sgpr_private_segment_wavefront_offset 0
		.amdhsa_system_sgpr_workgroup_id_x 1
		.amdhsa_system_sgpr_workgroup_id_y 0
		.amdhsa_system_sgpr_workgroup_id_z 0
		.amdhsa_system_sgpr_workgroup_info 0
		.amdhsa_system_vgpr_workitem_id 0
		.amdhsa_next_free_vgpr 27
		.amdhsa_next_free_sgpr 24
		.amdhsa_accum_offset 28
		.amdhsa_reserve_vcc 1
		.amdhsa_reserve_flat_scratch 0
		.amdhsa_float_round_mode_32 0
		.amdhsa_float_round_mode_16_64 0
		.amdhsa_float_denorm_mode_32 3
		.amdhsa_float_denorm_mode_16_64 3
		.amdhsa_dx10_clamp 1
		.amdhsa_ieee_mode 1
		.amdhsa_fp16_overflow 0
		.amdhsa_tg_split 0
		.amdhsa_exception_fp_ieee_invalid_op 0
		.amdhsa_exception_fp_denorm_src 0
		.amdhsa_exception_fp_ieee_div_zero 0
		.amdhsa_exception_fp_ieee_overflow 0
		.amdhsa_exception_fp_ieee_underflow 0
		.amdhsa_exception_fp_ieee_inexact 0
		.amdhsa_exception_int_div_zero 0
	.end_amdhsa_kernel
	.section	.text._ZN4vllm15rms_norm_kernelIN3c108BFloat16ELi2ELi3EEEvPT_PKS3_lllllS6_fii,"axG",@progbits,_ZN4vllm15rms_norm_kernelIN3c108BFloat16ELi2ELi3EEEvPT_PKS3_lllllS6_fii,comdat
.Lfunc_end28:
	.size	_ZN4vllm15rms_norm_kernelIN3c108BFloat16ELi2ELi3EEEvPT_PKS3_lllllS6_fii, .Lfunc_end28-_ZN4vllm15rms_norm_kernelIN3c108BFloat16ELi2ELi3EEEvPT_PKS3_lllllS6_fii
                                        ; -- End function
	.section	.AMDGPU.csdata,"",@progbits
; Kernel info:
; codeLenInByte = 3400
; NumSgprs: 28
; NumVgprs: 27
; NumAgprs: 0
; TotalNumVgprs: 27
; ScratchSize: 0
; MemoryBound: 0
; FloatMode: 240
; IeeeMode: 1
; LDSByteSize: 68 bytes/workgroup (compile time only)
; SGPRBlocks: 3
; VGPRBlocks: 3
; NumSGPRsForWavesPerEU: 28
; NumVGPRsForWavesPerEU: 27
; AccumOffset: 28
; Occupancy: 8
; WaveLimiterHint : 0
; COMPUTE_PGM_RSRC2:SCRATCH_EN: 0
; COMPUTE_PGM_RSRC2:USER_SGPR: 6
; COMPUTE_PGM_RSRC2:TRAP_HANDLER: 0
; COMPUTE_PGM_RSRC2:TGID_X_EN: 1
; COMPUTE_PGM_RSRC2:TGID_Y_EN: 0
; COMPUTE_PGM_RSRC2:TGID_Z_EN: 0
; COMPUTE_PGM_RSRC2:TIDIG_COMP_CNT: 0
; COMPUTE_PGM_RSRC3_GFX90A:ACCUM_OFFSET: 6
; COMPUTE_PGM_RSRC3_GFX90A:TG_SPLIT: 0
	.section	.text._ZN4vllm15rms_norm_kernelIN3c108BFloat16ELi1ELi3EEEvPT_PKS3_lllllS6_fii,"axG",@progbits,_ZN4vllm15rms_norm_kernelIN3c108BFloat16ELi1ELi3EEEvPT_PKS3_lllllS6_fii,comdat
	.protected	_ZN4vllm15rms_norm_kernelIN3c108BFloat16ELi1ELi3EEEvPT_PKS3_lllllS6_fii ; -- Begin function _ZN4vllm15rms_norm_kernelIN3c108BFloat16ELi1ELi3EEEvPT_PKS3_lllllS6_fii
	.globl	_ZN4vllm15rms_norm_kernelIN3c108BFloat16ELi1ELi3EEEvPT_PKS3_lllllS6_fii
	.p2align	8
	.type	_ZN4vllm15rms_norm_kernelIN3c108BFloat16ELi1ELi3EEEvPT_PKS3_lllllS6_fii,@function
_ZN4vllm15rms_norm_kernelIN3c108BFloat16ELi1ELi3EEEvPT_PKS3_lllllS6_fii: ; @_ZN4vllm15rms_norm_kernelIN3c108BFloat16ELi1ELi3EEEvPT_PKS3_lllllS6_fii
; %bb.0:
	s_load_dwordx2 s[8:9], s[4:5], 0x28
	s_load_dwordx2 s[2:3], s[4:5], 0x8
	s_mov_b32 s0, 0
	s_waitcnt lgkmcnt(0)
	s_mov_b32 s1, s9
	s_cmp_lg_u64 s[0:1], 0
	s_cbranch_scc0 .LBB29_25
; %bb.1:
	s_ashr_i32 s10, s9, 31
	s_add_u32 s0, s8, s10
	s_mov_b32 s11, s10
	s_addc_u32 s1, s9, s10
	s_xor_b64 s[14:15], s[0:1], s[10:11]
	v_cvt_f32_u32_e32 v1, s14
	v_cvt_f32_u32_e32 v2, s15
	s_sub_u32 s0, 0, s14
	s_subb_u32 s1, 0, s15
	v_madmk_f32 v1, v2, 0x4f800000, v1
	v_rcp_f32_e32 v1, v1
	v_mul_f32_e32 v1, 0x5f7ffffc, v1
	v_mul_f32_e32 v2, 0x2f800000, v1
	v_trunc_f32_e32 v2, v2
	v_madmk_f32 v1, v2, 0xcf800000, v1
	v_cvt_u32_f32_e32 v2, v2
	v_cvt_u32_f32_e32 v1, v1
	v_readfirstlane_b32 s7, v2
	v_readfirstlane_b32 s9, v1
	s_mul_i32 s16, s0, s7
	s_mul_hi_u32 s18, s0, s9
	s_mul_i32 s17, s1, s9
	s_add_i32 s16, s18, s16
	s_add_i32 s16, s16, s17
	s_mul_i32 s19, s0, s9
	s_mul_hi_u32 s17, s9, s16
	s_mul_i32 s18, s9, s16
	s_mul_hi_u32 s9, s9, s19
	s_add_u32 s9, s9, s18
	s_addc_u32 s17, 0, s17
	s_mul_hi_u32 s20, s7, s19
	s_mul_i32 s19, s7, s19
	s_add_u32 s9, s9, s19
	s_mul_hi_u32 s18, s7, s16
	s_addc_u32 s9, s17, s20
	s_addc_u32 s17, s18, 0
	s_mul_i32 s16, s7, s16
	s_add_u32 s9, s9, s16
	s_addc_u32 s16, 0, s17
	v_add_co_u32_e32 v1, vcc, s9, v1
	s_cmp_lg_u64 vcc, 0
	s_addc_u32 s7, s7, s16
	v_readfirstlane_b32 s16, v1
	s_mul_i32 s9, s0, s7
	s_mul_hi_u32 s17, s0, s16
	s_add_i32 s9, s17, s9
	s_mul_i32 s1, s1, s16
	s_add_i32 s9, s9, s1
	s_mul_i32 s0, s0, s16
	s_mul_hi_u32 s17, s7, s0
	s_mul_i32 s18, s7, s0
	s_mul_i32 s20, s16, s9
	s_mul_hi_u32 s0, s16, s0
	s_mul_hi_u32 s19, s16, s9
	s_add_u32 s0, s0, s20
	s_addc_u32 s16, 0, s19
	s_add_u32 s0, s0, s18
	s_mul_hi_u32 s1, s7, s9
	s_addc_u32 s0, s16, s17
	s_addc_u32 s1, s1, 0
	s_mul_i32 s9, s7, s9
	s_add_u32 s0, s0, s9
	s_addc_u32 s1, 0, s1
	v_add_co_u32_e32 v1, vcc, s0, v1
	s_cmp_lg_u64 vcc, 0
	s_addc_u32 s0, s7, s1
	v_readfirstlane_b32 s7, v1
	s_mul_hi_u32 s1, s6, s0
	s_mul_i32 s0, s6, s0
	s_mul_hi_u32 s7, s6, s7
	s_add_u32 s0, s7, s0
	s_addc_u32 s1, 0, s1
	s_add_u32 s0, s0, 0
	s_addc_u32 s0, s1, 0
	s_addc_u32 s1, 0, 0
	s_add_u32 s7, s0, 0
	s_addc_u32 s9, 0, s1
	s_mul_i32 s0, s14, s9
	s_mul_hi_u32 s1, s14, s7
	s_add_i32 s0, s1, s0
	s_mul_i32 s1, s15, s7
	s_add_i32 s16, s0, s1
	s_mul_i32 s1, s14, s7
	v_mov_b32_e32 v1, s1
	s_sub_i32 s0, 0, s16
	v_sub_co_u32_e32 v1, vcc, s6, v1
	s_cmp_lg_u64 vcc, 0
	s_subb_u32 s17, s0, s15
	v_subrev_co_u32_e64 v2, s[0:1], s14, v1
	s_cmp_lg_u64 s[0:1], 0
	s_subb_u32 s0, s17, 0
	s_cmp_ge_u32 s0, s15
	v_readfirstlane_b32 s17, v2
	s_cselect_b32 s1, -1, 0
	s_cmp_ge_u32 s17, s14
	s_cselect_b32 s17, -1, 0
	s_cmp_eq_u32 s0, s15
	s_cselect_b32 s0, s17, s1
	s_add_u32 s1, s7, 1
	s_addc_u32 s17, s9, 0
	s_add_u32 s18, s7, 2
	s_addc_u32 s19, s9, 0
	s_cmp_lg_u32 s0, 0
	s_cselect_b32 s0, s18, s1
	s_cselect_b32 s1, s19, s17
	s_cmp_lg_u64 vcc, 0
	s_subb_u32 s16, 0, s16
	s_cmp_ge_u32 s16, s15
	v_readfirstlane_b32 s18, v1
	s_cselect_b32 s17, -1, 0
	s_cmp_ge_u32 s18, s14
	s_cselect_b32 s14, -1, 0
	s_cmp_eq_u32 s16, s15
	s_cselect_b32 s14, s14, s17
	s_cmp_lg_u32 s14, 0
	s_cselect_b32 s1, s1, s9
	s_cselect_b32 s0, s0, s7
	s_xor_b64 s[0:1], s[0:1], s[10:11]
	s_sub_u32 s0, s0, s10
	s_subb_u32 s1, s1, s10
	s_cbranch_execnz .LBB29_3
.LBB29_2:
	v_cvt_f32_u32_e32 v1, s8
	s_sub_i32 s0, 0, s8
	s_mov_b32 s1, 0
	v_rcp_iflag_f32_e32 v1, v1
	v_mul_f32_e32 v1, 0x4f7ffffe, v1
	v_cvt_u32_f32_e32 v1, v1
	v_readfirstlane_b32 s7, v1
	s_mul_i32 s0, s0, s7
	s_mul_hi_u32 s0, s7, s0
	s_add_i32 s7, s7, s0
	s_mul_hi_u32 s0, s6, s7
	s_mul_i32 s9, s0, s8
	s_sub_i32 s9, s6, s9
	s_add_i32 s7, s0, 1
	s_sub_i32 s10, s9, s8
	s_cmp_ge_u32 s9, s8
	s_cselect_b32 s0, s7, s0
	s_cselect_b32 s9, s10, s9
	s_add_i32 s7, s0, 1
	s_cmp_ge_u32 s9, s8
	s_cselect_b32 s0, s7, s0
.LBB29_3:
	s_load_dwordx4 s[12:15], s[4:5], 0x10
	s_mul_i32 s7, s0, s8
	s_bfe_i64 s[8:9], s[0:1], 0x200000
	s_sub_i32 s10, s6, s7
	s_load_dword s7, s[4:5], 0x48
	s_load_dword s17, s[4:5], 0x5c
	s_waitcnt lgkmcnt(0)
	s_mul_i32 s1, s0, s15
	s_mul_hi_u32 s8, s0, s14
	s_add_i32 s1, s8, s1
	s_mul_i32 s8, s9, s14
	s_add_i32 s1, s1, s8
	s_mul_i32 s0, s0, s14
	s_lshl_b64 s[8:9], s[0:1], 1
	s_add_u32 s14, s2, s8
	s_addc_u32 s15, s3, s9
	s_ashr_i32 s0, s10, 31
	s_mul_i32 s1, s10, s13
	s_mul_hi_u32 s11, s10, s12
	s_add_i32 s1, s11, s1
	s_mul_i32 s0, s0, s12
	s_add_i32 s1, s1, s0
	s_mul_i32 s0, s10, s12
	s_lshl_b64 s[10:11], s[0:1], 1
	s_add_u32 s14, s14, s10
	s_addc_u32 s16, s15, s11
	s_and_b32 s15, s17, 0xffff
	s_bitcmp1_b32 s14, 0
	s_cselect_b64 s[0:1], -1, 0
	s_and_b64 vcc, exec, s[0:1]
	s_cbranch_vccz .LBB29_9
; %bb.4:
	s_min_i32 s12, s7, 0
	s_sub_i32 s17, s7, s12
	s_mov_b32 s19, 0
	v_cmp_gt_i32_e32 vcc, s17, v0
	v_mov_b32_e32 v4, 0
	s_and_saveexec_b64 s[0:1], vcc
	s_cbranch_execz .LBB29_8
; %bb.5:
	s_ashr_i32 s13, s12, 31
	s_add_u32 s18, s10, s8
	s_addc_u32 s20, s11, s9
	s_lshl_b64 s[12:13], s[12:13], 1
	s_add_u32 s12, s18, s12
	s_addc_u32 s13, s20, s13
	s_add_u32 s12, s2, s12
	v_lshlrev_b32_e32 v1, 1, v0
	s_addc_u32 s13, s3, s13
	v_mov_b32_e32 v3, s13
	v_add_co_u32_e32 v2, vcc, s12, v1
	v_addc_co_u32_e32 v3, vcc, 0, v3, vcc
	s_lshl_b32 s18, s15, 1
	s_mov_b64 s[12:13], 0
	v_mov_b32_e32 v4, 0
	v_mov_b32_e32 v1, s19
	;; [unrolled: 1-line block ×3, first 2 shown]
.LBB29_6:                               ; =>This Inner Loop Header: Depth=1
	global_load_ushort v6, v[2:3], off
	v_add_co_u32_e32 v2, vcc, s18, v2
	v_add_u32_e32 v5, s15, v5
	v_addc_co_u32_e32 v3, vcc, v3, v1, vcc
	v_cmp_le_i32_e32 vcc, s17, v5
	s_or_b64 s[12:13], vcc, s[12:13]
	s_waitcnt vmcnt(0)
	v_lshlrev_b32_e32 v6, 16, v6
	v_fmac_f32_e32 v4, v6, v6
	s_andn2_b64 exec, exec, s[12:13]
	s_cbranch_execnz .LBB29_6
; %bb.7:
	s_or_b64 exec, exec, s[12:13]
.LBB29_8:
	s_or_b64 exec, exec, s[0:1]
	v_cmp_gt_i32_e64 s[0:1], s7, v0
	s_cbranch_execz .LBB29_10
	s_branch .LBB29_15
.LBB29_9:
                                        ; implicit-def: $vgpr4
	v_cmp_gt_i32_e64 s[0:1], s7, v0
.LBB29_10:
	v_mov_b32_e32 v4, 0
	s_and_saveexec_b64 s[12:13], s[0:1]
	s_cbranch_execz .LBB29_14
; %bb.11:
	s_add_u32 s0, s10, s8
	s_addc_u32 s1, s11, s9
	s_add_u32 s0, s2, s0
	v_lshlrev_b32_e32 v1, 1, v0
	s_addc_u32 s1, s3, s1
	s_mov_b32 s8, 0
	v_mov_b32_e32 v3, s1
	v_add_co_u32_e32 v2, vcc, s0, v1
	v_addc_co_u32_e32 v3, vcc, 0, v3, vcc
	s_lshl_b32 s2, s15, 1
	s_mov_b64 s[0:1], 0
	v_mov_b32_e32 v4, 0
	v_mov_b32_e32 v1, s8
	;; [unrolled: 1-line block ×3, first 2 shown]
.LBB29_12:                              ; =>This Inner Loop Header: Depth=1
	global_load_ushort v6, v[2:3], off
	v_add_co_u32_e32 v2, vcc, s2, v2
	v_add_u32_e32 v5, s15, v5
	v_addc_co_u32_e32 v3, vcc, v3, v1, vcc
	v_cmp_le_i32_e32 vcc, s7, v5
	s_or_b64 s[0:1], vcc, s[0:1]
	s_waitcnt vmcnt(0)
	v_lshlrev_b32_e32 v6, 16, v6
	v_fmac_f32_e32 v4, v6, v6
	s_andn2_b64 exec, exec, s[0:1]
	s_cbranch_execnz .LBB29_12
; %bb.13:
	s_or_b64 exec, exec, s[0:1]
.LBB29_14:
	s_or_b64 exec, exec, s[12:13]
.LBB29_15:
	v_mbcnt_lo_u32_b32 v1, -1, 0
	v_mbcnt_hi_u32_b32 v1, -1, v1
	v_and_b32_e32 v2, 63, v1
	v_cmp_ne_u32_e32 vcc, 63, v2
	v_addc_co_u32_e32 v3, vcc, 0, v1, vcc
	v_lshlrev_b32_e32 v3, 2, v3
	ds_bpermute_b32 v3, v3, v4
	v_and_b32_e32 v5, 0x3c0, v0
	v_sub_u32_e64 v5, s15, v5 clamp
	v_add_u32_e32 v6, 1, v1
	v_cmp_lt_u32_e32 vcc, v6, v5
	s_waitcnt lgkmcnt(0)
	v_add_f32_e32 v3, v4, v3
	v_cndmask_b32_e32 v3, v4, v3, vcc
	v_cmp_gt_u32_e32 vcc, 62, v2
	v_cndmask_b32_e64 v4, 0, 1, vcc
	v_lshlrev_b32_e32 v4, 1, v4
	v_add_lshl_u32 v4, v4, v1, 2
	ds_bpermute_b32 v4, v4, v3
	v_add_u32_e32 v6, 2, v1
	v_cmp_lt_u32_e32 vcc, v6, v5
	v_add_u32_e32 v6, 4, v1
	s_waitcnt lgkmcnt(0)
	v_add_f32_e32 v4, v3, v4
	v_cndmask_b32_e32 v3, v3, v4, vcc
	v_cmp_gt_u32_e32 vcc, 60, v2
	v_cndmask_b32_e64 v4, 0, 1, vcc
	v_lshlrev_b32_e32 v4, 2, v4
	v_add_lshl_u32 v4, v4, v1, 2
	ds_bpermute_b32 v4, v4, v3
	v_cmp_lt_u32_e32 vcc, v6, v5
	v_add_u32_e32 v6, 8, v1
	s_waitcnt lgkmcnt(0)
	v_add_f32_e32 v4, v3, v4
	v_cndmask_b32_e32 v3, v3, v4, vcc
	v_cmp_gt_u32_e32 vcc, 56, v2
	v_cndmask_b32_e64 v4, 0, 1, vcc
	v_lshlrev_b32_e32 v4, 3, v4
	v_add_lshl_u32 v4, v4, v1, 2
	ds_bpermute_b32 v4, v4, v3
	;; [unrolled: 10-line block ×3, first 2 shown]
	v_cmp_lt_u32_e32 vcc, v6, v5
	s_waitcnt lgkmcnt(0)
	v_add_f32_e32 v4, v3, v4
	v_cndmask_b32_e32 v3, v3, v4, vcc
	v_cmp_gt_u32_e32 vcc, 32, v2
	v_cndmask_b32_e64 v2, 0, 1, vcc
	v_lshlrev_b32_e32 v2, 5, v2
	v_add_lshl_u32 v2, v2, v1, 2
	ds_bpermute_b32 v2, v2, v3
	v_add_u32_e32 v4, 32, v1
	v_cmp_lt_u32_e32 vcc, v4, v5
	s_waitcnt lgkmcnt(0)
	v_add_f32_e32 v2, v3, v2
	v_cndmask_b32_e32 v2, v3, v2, vcc
	v_cmp_eq_u32_e32 vcc, 0, v1
	s_and_saveexec_b64 s[0:1], vcc
	s_cbranch_execz .LBB29_17
; %bb.16:
	v_lshrrev_b32_e32 v3, 4, v0
	v_and_b32_e32 v3, 60, v3
	ds_write_b32 v3, v2
.LBB29_17:
	s_or_b64 exec, exec, s[0:1]
	v_cmp_gt_u32_e32 vcc, 16, v0
	s_waitcnt lgkmcnt(0)
	s_barrier
	s_and_saveexec_b64 s[2:3], vcc
	s_cbranch_execz .LBB29_19
; %bb.18:
	v_lshlrev_b32_e32 v2, 2, v1
	ds_read_b32 v2, v2
	v_and_b32_e32 v3, 15, v1
	v_cmp_ne_u32_e32 vcc, 15, v3
	v_addc_co_u32_e32 v4, vcc, 0, v1, vcc
	v_lshlrev_b32_e32 v4, 2, v4
	s_waitcnt lgkmcnt(0)
	ds_bpermute_b32 v4, v4, v2
	s_add_i32 s0, s15, 63
	s_lshr_b32 s8, s0, 6
	v_add_u32_e32 v5, 1, v3
	v_cmp_gt_u32_e64 s[0:1], 14, v3
	v_cmp_gt_u32_e32 vcc, s8, v5
	v_cndmask_b32_e64 v5, 0, 1, s[0:1]
	s_waitcnt lgkmcnt(0)
	v_add_f32_e32 v4, v2, v4
	v_lshlrev_b32_e32 v5, 1, v5
	v_cndmask_b32_e32 v4, v2, v4, vcc
	v_add_lshl_u32 v5, v5, v1, 2
	ds_bpermute_b32 v5, v5, v4
	v_add_u32_e32 v6, 2, v3
	v_cmp_gt_u32_e64 s[0:1], s8, v6
	v_add_u32_e32 v6, 4, v3
	s_waitcnt lgkmcnt(0)
	v_add_f32_e32 v5, v4, v5
	v_cndmask_b32_e64 v4, v4, v5, s[0:1]
	v_cmp_gt_u32_e64 s[0:1], 12, v3
	v_cndmask_b32_e64 v5, 0, 1, s[0:1]
	v_lshlrev_b32_e32 v5, 2, v5
	v_add_lshl_u32 v5, v5, v1, 2
	ds_bpermute_b32 v5, v5, v4
	v_cmp_gt_u32_e64 s[0:1], s8, v6
	s_waitcnt lgkmcnt(0)
	v_add_f32_e32 v5, v4, v5
	v_cndmask_b32_e64 v4, v4, v5, s[0:1]
	v_cmp_gt_u32_e64 s[0:1], 8, v3
	v_cndmask_b32_e64 v5, 0, 1, s[0:1]
	v_lshlrev_b32_e32 v5, 3, v5
	v_add_lshl_u32 v1, v5, v1, 2
	ds_bpermute_b32 v1, v1, v4
	v_add_u32_e32 v3, 8, v3
	v_cmp_gt_u32_e64 s[0:1], s8, v3
	s_waitcnt lgkmcnt(0)
	v_add_f32_e32 v1, v4, v1
	v_cndmask_b32_e64 v1, v4, v1, s[0:1]
	v_cndmask_b32_e32 v2, v2, v1, vcc
.LBB29_19:
	s_or_b64 exec, exec, s[2:3]
	v_cmp_eq_u32_e32 vcc, 0, v0
	s_and_saveexec_b64 s[0:1], vcc
	s_cbranch_execz .LBB29_21
; %bb.20:
	v_cvt_f32_i32_e32 v1, s7
	s_load_dword s8, s[4:5], 0x40
	v_div_scale_f32 v3, s[2:3], v1, v1, v2
	v_rcp_f32_e32 v4, v3
	v_div_scale_f32 v5, vcc, v2, v1, v2
	s_mov_b32 s2, 0x800000
	v_fma_f32 v6, -v3, v4, 1.0
	v_fmac_f32_e32 v4, v6, v4
	v_mul_f32_e32 v6, v5, v4
	v_fma_f32 v7, -v3, v6, v5
	v_fmac_f32_e32 v6, v7, v4
	v_fma_f32 v3, -v3, v6, v5
	v_div_fmas_f32 v3, v3, v4, v6
	v_div_fixup_f32 v1, v3, v1, v2
	s_waitcnt lgkmcnt(0)
	v_add_f32_e32 v1, s8, v1
	v_mul_f32_e32 v2, 0x4b800000, v1
	v_cmp_gt_f32_e32 vcc, s2, v1
	v_cndmask_b32_e32 v1, v1, v2, vcc
	v_rsq_f32_e32 v1, v1
	v_mul_f32_e32 v2, 0x45800000, v1
	v_cndmask_b32_e32 v1, v1, v2, vcc
	v_mov_b32_e32 v2, 0
	ds_write_b32 v2, v1 offset:64
.LBB29_21:
	s_or_b64 exec, exec, s[0:1]
	v_cmp_gt_i32_e32 vcc, s7, v0
	s_waitcnt lgkmcnt(0)
	s_barrier
	s_and_saveexec_b64 s[0:1], vcc
	s_cbranch_execz .LBB29_24
; %bb.22:
	s_load_dwordx2 s[0:1], s[4:5], 0x0
	s_load_dwordx2 s[2:3], s[4:5], 0x38
	v_mov_b32_e32 v1, 0
	s_mul_i32 s4, s6, s7
	s_mov_b32 s5, 0
	ds_read_b32 v2, v1 offset:64
	s_lshl_b64 s[4:5], s[4:5], 1
	s_waitcnt lgkmcnt(0)
	s_add_u32 s6, s0, s4
	s_addc_u32 s0, s1, s5
	s_mov_b64 s[4:5], 0
	v_mov_b32_e32 v3, s16
	v_mov_b32_e32 v4, s3
	s_movk_i32 s3, 0x7fff
	v_mov_b32_e32 v5, 0x7fc00000
	v_mov_b32_e32 v6, 0x7fc0
	;; [unrolled: 1-line block ×3, first 2 shown]
.LBB29_23:                              ; =>This Inner Loop Header: Depth=1
	v_ashrrev_i32_e32 v1, 31, v0
	v_lshlrev_b64 v[8:9], 1, v[0:1]
	v_add_co_u32_e32 v10, vcc, s14, v8
	v_addc_co_u32_e32 v11, vcc, v3, v9, vcc
	v_add_co_u32_e32 v12, vcc, s2, v8
	v_addc_co_u32_e32 v13, vcc, v4, v9, vcc
	global_load_ushort v1, v[10:11], off
	global_load_ushort v14, v[12:13], off
	v_add_co_u32_e32 v8, vcc, s6, v8
	v_add_u32_e32 v0, s15, v0
	v_addc_co_u32_e32 v9, vcc, v7, v9, vcc
	v_cmp_le_i32_e32 vcc, s7, v0
	s_or_b64 s[4:5], vcc, s[4:5]
	s_waitcnt vmcnt(1)
	v_lshlrev_b32_e32 v1, 16, v1
	v_mul_f32_e32 v1, v2, v1
	v_bfe_u32 v11, v1, 16, 1
	v_add3_u32 v11, v1, v11, s3
	v_and_b32_e32 v11, 0xffff0000, v11
	v_cmp_o_f32_e64 s[0:1], v1, v1
	s_waitcnt vmcnt(0)
	v_lshlrev_b32_e32 v10, 16, v14
	v_cndmask_b32_e64 v1, v5, v11, s[0:1]
	v_mul_f32_e32 v1, v1, v10
	v_bfe_u32 v10, v1, 16, 1
	v_add3_u32 v10, v1, v10, s3
	v_lshrrev_b32_e32 v10, 16, v10
	v_cmp_o_f32_e64 s[0:1], v1, v1
	v_cndmask_b32_e64 v1, v6, v10, s[0:1]
	global_store_short v[8:9], v1, off
	s_andn2_b64 exec, exec, s[4:5]
	s_cbranch_execnz .LBB29_23
.LBB29_24:
	s_endpgm
.LBB29_25:
                                        ; implicit-def: $sgpr0_sgpr1
	s_branch .LBB29_2
	.section	.rodata,"a",@progbits
	.p2align	6, 0x0
	.amdhsa_kernel _ZN4vllm15rms_norm_kernelIN3c108BFloat16ELi1ELi3EEEvPT_PKS3_lllllS6_fii
		.amdhsa_group_segment_fixed_size 68
		.amdhsa_private_segment_fixed_size 0
		.amdhsa_kernarg_size 336
		.amdhsa_user_sgpr_count 6
		.amdhsa_user_sgpr_private_segment_buffer 1
		.amdhsa_user_sgpr_dispatch_ptr 0
		.amdhsa_user_sgpr_queue_ptr 0
		.amdhsa_user_sgpr_kernarg_segment_ptr 1
		.amdhsa_user_sgpr_dispatch_id 0
		.amdhsa_user_sgpr_flat_scratch_init 0
		.amdhsa_user_sgpr_kernarg_preload_length 0
		.amdhsa_user_sgpr_kernarg_preload_offset 0
		.amdhsa_user_sgpr_private_segment_size 0
		.amdhsa_uses_dynamic_stack 0
		.amdhsa_system_sgpr_private_segment_wavefront_offset 0
		.amdhsa_system_sgpr_workgroup_id_x 1
		.amdhsa_system_sgpr_workgroup_id_y 0
		.amdhsa_system_sgpr_workgroup_id_z 0
		.amdhsa_system_sgpr_workgroup_info 0
		.amdhsa_system_vgpr_workitem_id 0
		.amdhsa_next_free_vgpr 15
		.amdhsa_next_free_sgpr 21
		.amdhsa_accum_offset 16
		.amdhsa_reserve_vcc 1
		.amdhsa_reserve_flat_scratch 0
		.amdhsa_float_round_mode_32 0
		.amdhsa_float_round_mode_16_64 0
		.amdhsa_float_denorm_mode_32 3
		.amdhsa_float_denorm_mode_16_64 3
		.amdhsa_dx10_clamp 1
		.amdhsa_ieee_mode 1
		.amdhsa_fp16_overflow 0
		.amdhsa_tg_split 0
		.amdhsa_exception_fp_ieee_invalid_op 0
		.amdhsa_exception_fp_denorm_src 0
		.amdhsa_exception_fp_ieee_div_zero 0
		.amdhsa_exception_fp_ieee_overflow 0
		.amdhsa_exception_fp_ieee_underflow 0
		.amdhsa_exception_fp_ieee_inexact 0
		.amdhsa_exception_int_div_zero 0
	.end_amdhsa_kernel
	.section	.text._ZN4vllm15rms_norm_kernelIN3c108BFloat16ELi1ELi3EEEvPT_PKS3_lllllS6_fii,"axG",@progbits,_ZN4vllm15rms_norm_kernelIN3c108BFloat16ELi1ELi3EEEvPT_PKS3_lllllS6_fii,comdat
.Lfunc_end29:
	.size	_ZN4vllm15rms_norm_kernelIN3c108BFloat16ELi1ELi3EEEvPT_PKS3_lllllS6_fii, .Lfunc_end29-_ZN4vllm15rms_norm_kernelIN3c108BFloat16ELi1ELi3EEEvPT_PKS3_lllllS6_fii
                                        ; -- End function
	.section	.AMDGPU.csdata,"",@progbits
; Kernel info:
; codeLenInByte = 2192
; NumSgprs: 25
; NumVgprs: 15
; NumAgprs: 0
; TotalNumVgprs: 15
; ScratchSize: 0
; MemoryBound: 0
; FloatMode: 240
; IeeeMode: 1
; LDSByteSize: 68 bytes/workgroup (compile time only)
; SGPRBlocks: 3
; VGPRBlocks: 1
; NumSGPRsForWavesPerEU: 25
; NumVGPRsForWavesPerEU: 15
; AccumOffset: 16
; Occupancy: 8
; WaveLimiterHint : 0
; COMPUTE_PGM_RSRC2:SCRATCH_EN: 0
; COMPUTE_PGM_RSRC2:USER_SGPR: 6
; COMPUTE_PGM_RSRC2:TRAP_HANDLER: 0
; COMPUTE_PGM_RSRC2:TGID_X_EN: 1
; COMPUTE_PGM_RSRC2:TGID_Y_EN: 0
; COMPUTE_PGM_RSRC2:TGID_Z_EN: 0
; COMPUTE_PGM_RSRC2:TIDIG_COMP_CNT: 0
; COMPUTE_PGM_RSRC3_GFX90A:ACCUM_OFFSET: 3
; COMPUTE_PGM_RSRC3_GFX90A:TG_SPLIT: 0
	.section	.text._ZN4vllm15rms_norm_kernelIfLi16ELi4EEEvPT_PKS1_lllllS4_fii,"axG",@progbits,_ZN4vllm15rms_norm_kernelIfLi16ELi4EEEvPT_PKS1_lllllS4_fii,comdat
	.protected	_ZN4vllm15rms_norm_kernelIfLi16ELi4EEEvPT_PKS1_lllllS4_fii ; -- Begin function _ZN4vllm15rms_norm_kernelIfLi16ELi4EEEvPT_PKS1_lllllS4_fii
	.globl	_ZN4vllm15rms_norm_kernelIfLi16ELi4EEEvPT_PKS1_lllllS4_fii
	.p2align	8
	.type	_ZN4vllm15rms_norm_kernelIfLi16ELi4EEEvPT_PKS1_lllllS4_fii,@function
_ZN4vllm15rms_norm_kernelIfLi16ELi4EEEvPT_PKS1_lllllS4_fii: ; @_ZN4vllm15rms_norm_kernelIfLi16ELi4EEEvPT_PKS1_lllllS4_fii
; %bb.0:
	s_load_dwordx8 s[8:15], s[4:5], 0x10
	s_load_dwordx2 s[2:3], s[4:5], 0x30
	s_mov_b32 s0, 0
	s_waitcnt lgkmcnt(0)
	s_mul_i32 s1, s2, s15
	s_mul_hi_u32 s7, s2, s14
	s_add_i32 s1, s7, s1
	s_mul_i32 s3, s3, s14
	s_add_i32 s1, s1, s3
	s_cmp_lg_u64 s[0:1], 0
	s_mul_i32 s7, s2, s14
	s_cbranch_scc0 .LBB30_36
; %bb.1:
	s_ashr_i32 s2, s1, 31
	s_add_u32 s0, s7, s2
	s_mov_b32 s3, s2
	s_addc_u32 s1, s1, s2
	s_xor_b64 s[16:17], s[0:1], s[2:3]
	v_cvt_f32_u32_e32 v1, s16
	v_cvt_f32_u32_e32 v2, s17
	s_sub_u32 s0, 0, s16
	s_subb_u32 s1, 0, s17
	v_madmk_f32 v1, v2, 0x4f800000, v1
	v_rcp_f32_e32 v1, v1
	v_mul_f32_e32 v1, 0x5f7ffffc, v1
	v_mul_f32_e32 v2, 0x2f800000, v1
	v_trunc_f32_e32 v2, v2
	v_madmk_f32 v1, v2, 0xcf800000, v1
	v_cvt_u32_f32_e32 v2, v2
	v_cvt_u32_f32_e32 v1, v1
	v_readfirstlane_b32 s20, v2
	v_readfirstlane_b32 s21, v1
	s_mul_i32 s22, s0, s20
	s_mul_hi_u32 s24, s0, s21
	s_mul_i32 s23, s1, s21
	s_add_i32 s22, s24, s22
	s_add_i32 s22, s22, s23
	s_mul_i32 s25, s0, s21
	s_mul_hi_u32 s23, s21, s22
	s_mul_i32 s24, s21, s22
	s_mul_hi_u32 s21, s21, s25
	s_add_u32 s21, s21, s24
	s_addc_u32 s23, 0, s23
	s_mul_hi_u32 s26, s20, s25
	s_mul_i32 s25, s20, s25
	s_add_u32 s21, s21, s25
	s_mul_hi_u32 s24, s20, s22
	s_addc_u32 s21, s23, s26
	s_addc_u32 s23, s24, 0
	s_mul_i32 s22, s20, s22
	s_add_u32 s21, s21, s22
	s_addc_u32 s22, 0, s23
	v_add_co_u32_e32 v1, vcc, s21, v1
	s_cmp_lg_u64 vcc, 0
	s_addc_u32 s20, s20, s22
	v_readfirstlane_b32 s22, v1
	s_mul_i32 s21, s0, s20
	s_mul_hi_u32 s23, s0, s22
	s_add_i32 s21, s23, s21
	s_mul_i32 s1, s1, s22
	s_add_i32 s21, s21, s1
	s_mul_i32 s0, s0, s22
	s_mul_hi_u32 s23, s20, s0
	s_mul_i32 s24, s20, s0
	s_mul_i32 s26, s22, s21
	s_mul_hi_u32 s0, s22, s0
	s_mul_hi_u32 s25, s22, s21
	s_add_u32 s0, s0, s26
	s_addc_u32 s22, 0, s25
	s_add_u32 s0, s0, s24
	s_mul_hi_u32 s1, s20, s21
	s_addc_u32 s0, s22, s23
	s_addc_u32 s1, s1, 0
	s_mul_i32 s21, s20, s21
	s_add_u32 s0, s0, s21
	s_addc_u32 s1, 0, s1
	v_add_co_u32_e32 v1, vcc, s0, v1
	s_cmp_lg_u64 vcc, 0
	s_addc_u32 s0, s20, s1
	v_readfirstlane_b32 s20, v1
	s_mul_hi_u32 s1, s6, s0
	s_mul_i32 s0, s6, s0
	s_mul_hi_u32 s20, s6, s20
	s_add_u32 s0, s20, s0
	s_addc_u32 s1, 0, s1
	s_add_u32 s0, s0, 0
	s_addc_u32 s0, s1, 0
	s_addc_u32 s1, 0, 0
	s_add_u32 s20, s0, 0
	s_addc_u32 s21, 0, s1
	s_mul_i32 s0, s16, s21
	s_mul_hi_u32 s1, s16, s20
	s_add_i32 s0, s1, s0
	s_mul_i32 s1, s17, s20
	s_add_i32 s22, s0, s1
	s_mul_i32 s1, s16, s20
	v_mov_b32_e32 v1, s1
	s_sub_i32 s0, 0, s22
	v_sub_co_u32_e32 v1, vcc, s6, v1
	s_cmp_lg_u64 vcc, 0
	s_subb_u32 s23, s0, s17
	v_subrev_co_u32_e64 v2, s[0:1], s16, v1
	s_cmp_lg_u64 s[0:1], 0
	s_subb_u32 s0, s23, 0
	s_cmp_ge_u32 s0, s17
	v_readfirstlane_b32 s23, v2
	s_cselect_b32 s1, -1, 0
	s_cmp_ge_u32 s23, s16
	s_cselect_b32 s23, -1, 0
	s_cmp_eq_u32 s0, s17
	s_cselect_b32 s0, s23, s1
	s_add_u32 s1, s20, 1
	s_addc_u32 s23, s21, 0
	s_add_u32 s24, s20, 2
	s_addc_u32 s25, s21, 0
	s_cmp_lg_u32 s0, 0
	s_cselect_b32 s0, s24, s1
	s_cselect_b32 s1, s25, s23
	s_cmp_lg_u64 vcc, 0
	s_subb_u32 s22, 0, s22
	s_cmp_ge_u32 s22, s17
	v_readfirstlane_b32 s24, v1
	s_cselect_b32 s23, -1, 0
	s_cmp_ge_u32 s24, s16
	s_cselect_b32 s16, -1, 0
	s_cmp_eq_u32 s22, s17
	s_cselect_b32 s16, s16, s23
	s_cmp_lg_u32 s16, 0
	s_cselect_b32 s1, s1, s21
	s_cselect_b32 s0, s0, s20
	s_xor_b64 s[0:1], s[0:1], s[2:3]
	s_sub_u32 s16, s0, s2
	s_subb_u32 s17, s1, s2
	s_cbranch_execnz .LBB30_3
.LBB30_2:
	v_cvt_f32_u32_e32 v1, s7
	s_sub_i32 s0, 0, s7
	s_mov_b32 s17, 0
	v_rcp_iflag_f32_e32 v1, v1
	v_mul_f32_e32 v1, 0x4f7ffffe, v1
	v_cvt_u32_f32_e32 v1, v1
	v_readfirstlane_b32 s1, v1
	s_mul_i32 s0, s0, s1
	s_mul_hi_u32 s0, s1, s0
	s_add_i32 s1, s1, s0
	s_mul_hi_u32 s0, s6, s1
	s_mul_i32 s2, s0, s7
	s_sub_i32 s2, s6, s2
	s_add_i32 s1, s0, 1
	s_sub_i32 s3, s2, s7
	s_cmp_ge_u32 s2, s7
	s_cselect_b32 s0, s1, s0
	s_cselect_b32 s2, s3, s2
	s_add_i32 s1, s0, 1
	s_cmp_ge_u32 s2, s7
	s_cselect_b32 s16, s1, s0
.LBB30_3:
	s_mul_i32 s0, s16, s7
	s_load_dwordx2 s[2:3], s[4:5], 0x8
	s_sub_i32 s18, s6, s0
	s_ashr_i32 s19, s18, 31
	s_or_b64 s[0:1], s[18:19], s[14:15]
	s_mov_b32 s0, 0
	s_cmp_lg_u64 s[0:1], 0
	s_cbranch_scc0 .LBB30_37
; %bb.4:
	s_ashr_i32 s20, s15, 31
	s_add_u32 s0, s14, s20
	s_mov_b32 s21, s20
	s_addc_u32 s1, s15, s20
	s_xor_b64 s[24:25], s[0:1], s[20:21]
	v_cvt_f32_u32_e32 v1, s24
	v_cvt_f32_u32_e32 v2, s25
	s_sub_u32 s0, 0, s24
	s_subb_u32 s1, 0, s25
	v_madmk_f32 v1, v2, 0x4f800000, v1
	v_rcp_f32_e32 v1, v1
	v_mul_f32_e32 v1, 0x5f7ffffc, v1
	v_mul_f32_e32 v2, 0x2f800000, v1
	v_trunc_f32_e32 v2, v2
	v_madmk_f32 v1, v2, 0xcf800000, v1
	v_cvt_u32_f32_e32 v2, v2
	v_cvt_u32_f32_e32 v1, v1
	v_readfirstlane_b32 s7, v2
	v_readfirstlane_b32 s26, v1
	s_mul_i32 s27, s0, s7
	s_mul_hi_u32 s29, s0, s26
	s_mul_i32 s28, s1, s26
	s_add_i32 s27, s29, s27
	s_add_i32 s27, s27, s28
	s_mul_i32 s30, s0, s26
	s_mul_hi_u32 s28, s26, s27
	s_mul_i32 s29, s26, s27
	s_mul_hi_u32 s26, s26, s30
	s_add_u32 s26, s26, s29
	s_addc_u32 s28, 0, s28
	s_mul_hi_u32 s31, s7, s30
	s_mul_i32 s30, s7, s30
	s_add_u32 s26, s26, s30
	s_mul_hi_u32 s29, s7, s27
	s_addc_u32 s26, s28, s31
	s_addc_u32 s28, s29, 0
	s_mul_i32 s27, s7, s27
	s_add_u32 s26, s26, s27
	s_addc_u32 s27, 0, s28
	v_add_co_u32_e32 v1, vcc, s26, v1
	s_cmp_lg_u64 vcc, 0
	s_addc_u32 s7, s7, s27
	v_readfirstlane_b32 s27, v1
	s_mul_i32 s26, s0, s7
	s_mul_hi_u32 s28, s0, s27
	s_add_i32 s26, s28, s26
	s_mul_i32 s1, s1, s27
	s_add_i32 s26, s26, s1
	s_mul_i32 s0, s0, s27
	s_mul_hi_u32 s28, s7, s0
	s_mul_i32 s29, s7, s0
	s_mul_i32 s31, s27, s26
	s_mul_hi_u32 s0, s27, s0
	s_mul_hi_u32 s30, s27, s26
	s_add_u32 s0, s0, s31
	s_addc_u32 s27, 0, s30
	s_add_u32 s0, s0, s29
	s_mul_hi_u32 s1, s7, s26
	s_addc_u32 s0, s27, s28
	s_addc_u32 s1, s1, 0
	s_mul_i32 s26, s7, s26
	s_add_u32 s0, s0, s26
	s_addc_u32 s1, 0, s1
	v_add_co_u32_e32 v1, vcc, s0, v1
	s_cmp_lg_u64 vcc, 0
	s_addc_u32 s7, s7, s1
	s_add_u32 s0, s18, s19
	s_mov_b32 s26, s19
	s_mov_b32 s27, s19
	s_addc_u32 s1, s19, s19
	s_xor_b64 s[28:29], s[0:1], s[26:27]
	v_readfirstlane_b32 s30, v1
	s_mul_i32 s1, s28, s7
	s_mul_hi_u32 s31, s28, s30
	s_mul_hi_u32 s0, s28, s7
	s_add_u32 s1, s31, s1
	s_addc_u32 s0, 0, s0
	s_mul_hi_u32 s33, s29, s30
	s_mul_i32 s30, s29, s30
	s_add_u32 s1, s1, s30
	s_mul_hi_u32 s31, s29, s7
	s_addc_u32 s0, s0, s33
	s_addc_u32 s1, s31, 0
	s_mul_i32 s7, s29, s7
	s_add_u32 s7, s0, s7
	s_addc_u32 s30, 0, s1
	s_mul_i32 s0, s24, s30
	s_mul_hi_u32 s1, s24, s7
	s_add_i32 s0, s1, s0
	s_mul_i32 s1, s25, s7
	s_add_i32 s31, s0, s1
	s_mul_i32 s1, s24, s7
	v_mov_b32_e32 v1, s1
	s_sub_i32 s0, s29, s31
	v_sub_co_u32_e32 v1, vcc, s28, v1
	s_cmp_lg_u64 vcc, 0
	s_subb_u32 s28, s0, s25
	v_subrev_co_u32_e64 v2, s[0:1], s24, v1
	s_cmp_lg_u64 s[0:1], 0
	s_subb_u32 s0, s28, 0
	s_cmp_ge_u32 s0, s25
	v_readfirstlane_b32 s28, v2
	s_cselect_b32 s1, -1, 0
	s_cmp_ge_u32 s28, s24
	s_cselect_b32 s28, -1, 0
	s_cmp_eq_u32 s0, s25
	s_cselect_b32 s0, s28, s1
	s_add_u32 s1, s7, 1
	s_addc_u32 s28, s30, 0
	s_add_u32 s33, s7, 2
	s_addc_u32 s34, s30, 0
	s_cmp_lg_u32 s0, 0
	s_cselect_b32 s0, s33, s1
	s_cselect_b32 s1, s34, s28
	s_cmp_lg_u64 vcc, 0
	s_subb_u32 s28, s29, s31
	s_cmp_ge_u32 s28, s25
	v_readfirstlane_b32 s31, v1
	s_cselect_b32 s29, -1, 0
	s_cmp_ge_u32 s31, s24
	s_cselect_b32 s24, -1, 0
	s_cmp_eq_u32 s28, s25
	s_cselect_b32 s24, s24, s29
	s_cmp_lg_u32 s24, 0
	s_cselect_b32 s1, s1, s30
	s_cselect_b32 s0, s0, s7
	s_xor_b64 s[20:21], s[26:27], s[20:21]
	s_xor_b64 s[0:1], s[0:1], s[20:21]
	s_sub_u32 s20, s0, s20
	s_subb_u32 s21, s1, s21
	s_cbranch_execnz .LBB30_6
.LBB30_5:
	v_cvt_f32_u32_e32 v1, s14
	s_sub_i32 s0, 0, s14
	s_mov_b32 s21, 0
	v_rcp_iflag_f32_e32 v1, v1
	v_mul_f32_e32 v1, 0x4f7ffffe, v1
	v_cvt_u32_f32_e32 v1, v1
	v_readfirstlane_b32 s1, v1
	s_mul_i32 s0, s0, s1
	s_mul_hi_u32 s0, s1, s0
	s_add_i32 s1, s1, s0
	s_mul_hi_u32 s0, s18, s1
	s_mul_i32 s7, s0, s14
	s_sub_i32 s7, s18, s7
	s_add_i32 s1, s0, 1
	s_sub_i32 s20, s7, s14
	s_cmp_ge_u32 s7, s14
	s_cselect_b32 s0, s1, s0
	s_cselect_b32 s7, s20, s7
	s_add_i32 s1, s0, 1
	s_cmp_ge_u32 s7, s14
	s_cselect_b32 s20, s1, s0
.LBB30_6:
	s_mul_i32 s0, s20, s15
	s_mul_hi_u32 s1, s20, s14
	s_add_i32 s0, s1, s0
	s_mul_i32 s1, s21, s14
	s_add_i32 s0, s0, s1
	s_mul_i32 s1, s20, s14
	s_sub_u32 s14, s18, s1
	s_subb_u32 s7, s19, s0
	s_bfe_i64 s[0:1], s[16:17], 0x200000
	s_mul_i32 s0, s16, s13
	s_mul_hi_u32 s13, s16, s12
	s_add_i32 s0, s13, s0
	s_mul_i32 s1, s1, s12
	s_add_i32 s1, s0, s1
	s_mul_i32 s0, s16, s12
	s_lshl_b64 s[0:1], s[0:1], 2
	s_waitcnt lgkmcnt(0)
	s_add_u32 s15, s2, s0
	s_addc_u32 s16, s3, s1
	s_bfe_i64 s[12:13], s[20:21], 0x200000
	s_mul_i32 s11, s20, s11
	s_mul_hi_u32 s12, s20, s10
	s_add_i32 s11, s12, s11
	s_mul_i32 s12, s13, s10
	s_add_i32 s11, s11, s12
	s_mul_i32 s10, s20, s10
	s_lshl_b64 s[10:11], s[10:11], 2
	s_add_u32 s12, s15, s10
	s_mul_i32 s9, s14, s9
	s_mul_hi_u32 s15, s14, s8
	s_addc_u32 s13, s16, s11
	s_add_i32 s9, s15, s9
	s_mul_i32 s7, s7, s8
	s_add_i32 s9, s9, s7
	s_load_dword s7, s[4:5], 0x48
	s_load_dword s15, s[4:5], 0x5c
	s_mul_i32 s8, s14, s8
	s_lshl_b64 s[8:9], s[8:9], 2
	s_add_u32 s18, s12, s8
	s_addc_u32 s19, s13, s9
	s_waitcnt lgkmcnt(0)
	s_and_b32 s20, s15, 0xffff
	s_and_b32 s12, s18, 63
	s_mov_b32 s13, 0
	s_cmp_lg_u64 s[12:13], 0
	s_cselect_b64 s[12:13], -1, 0
	s_and_b32 s14, s7, 15
	s_cmp_lg_u32 s14, 0
	s_cselect_b64 s[14:15], -1, 0
	s_or_b64 s[12:13], s[14:15], s[12:13]
	s_and_b64 vcc, exec, s[12:13]
	s_cbranch_vccz .LBB30_20
; %bb.7:
	s_sub_i32 s12, 0, s18
	s_bfe_u32 s12, s12, 0x40002
	s_min_i32 s12, s12, s7
	v_cmp_gt_i32_e32 vcc, s12, v0
	v_mov_b32_e32 v1, 0
	s_and_saveexec_b64 s[14:15], vcc
	s_cbranch_execz .LBB30_11
; %bb.8:
	s_add_u32 s13, s8, s0
	s_addc_u32 s16, s9, s1
	s_add_u32 s13, s13, s10
	s_addc_u32 s16, s16, s11
	s_add_u32 s13, s2, s13
	v_lshlrev_b32_e32 v1, 2, v0
	s_addc_u32 s16, s3, s16
	s_mov_b32 s21, 0
	v_mov_b32_e32 v3, s16
	v_add_co_u32_e32 v2, vcc, s13, v1
	v_addc_co_u32_e32 v3, vcc, 0, v3, vcc
	s_lshl_b32 s13, s20, 2
	s_mov_b64 s[16:17], 0
	v_mov_b32_e32 v1, 0
	v_mov_b32_e32 v4, s21
	;; [unrolled: 1-line block ×3, first 2 shown]
.LBB30_9:                               ; =>This Inner Loop Header: Depth=1
	global_load_dword v6, v[2:3], off
	v_add_co_u32_e32 v2, vcc, s13, v2
	v_add_u32_e32 v5, s20, v5
	v_addc_co_u32_e32 v3, vcc, v3, v4, vcc
	v_cmp_le_i32_e32 vcc, s12, v5
	s_or_b64 s[16:17], vcc, s[16:17]
	s_waitcnt vmcnt(0)
	v_fmac_f32_e32 v1, v6, v6
	s_andn2_b64 exec, exec, s[16:17]
	s_cbranch_execnz .LBB30_9
; %bb.10:
	s_or_b64 exec, exec, s[16:17]
.LBB30_11:
	s_or_b64 exec, exec, s[14:15]
	s_sub_i32 s21, s7, s12
	s_ashr_i32 s14, s21, 31
	s_lshr_b32 s14, s14, 28
	s_add_i32 s14, s21, s14
	s_ashr_i32 s22, s14, 4
	s_ashr_i32 s13, s12, 31
	v_cmp_gt_i32_e32 vcc, s22, v0
	s_and_saveexec_b64 s[14:15], vcc
	s_cbranch_execz .LBB30_15
; %bb.12:
	s_add_u32 s16, s8, s0
	s_addc_u32 s17, s9, s1
	s_add_u32 s23, s16, s10
	s_addc_u32 s24, s17, s11
	s_lshl_b64 s[16:17], s[12:13], 2
	s_add_u32 s16, s2, s16
	s_addc_u32 s17, s3, s17
	s_add_u32 s16, s16, s23
	v_lshlrev_b32_e32 v2, 6, v0
	s_addc_u32 s17, s17, s24
	s_mov_b32 s25, 0
	v_mov_b32_e32 v3, s17
	v_add_co_u32_e32 v2, vcc, s16, v2
	v_addc_co_u32_e32 v3, vcc, 0, v3, vcc
	s_lshl_b32 s23, s20, 6
	s_mov_b64 s[16:17], 0
	v_mov_b32_e32 v4, s25
	v_mov_b32_e32 v5, v0
.LBB30_13:                              ; =>This Inner Loop Header: Depth=1
	global_load_dwordx4 v[6:9], v[2:3], off
	global_load_dwordx4 v[10:13], v[2:3], off offset:16
	global_load_dwordx4 v[14:17], v[2:3], off offset:32
	;; [unrolled: 1-line block ×3, first 2 shown]
	v_add_co_u32_e32 v2, vcc, s23, v2
	v_add_u32_e32 v5, s20, v5
	v_addc_co_u32_e32 v3, vcc, v3, v4, vcc
	v_cmp_le_i32_e32 vcc, s22, v5
	s_or_b64 s[16:17], vcc, s[16:17]
	s_waitcnt vmcnt(3)
	v_fmac_f32_e32 v1, v6, v6
	v_fmac_f32_e32 v1, v7, v7
	v_fmac_f32_e32 v1, v8, v8
	v_fmac_f32_e32 v1, v9, v9
	s_waitcnt vmcnt(2)
	v_fmac_f32_e32 v1, v10, v10
	v_fmac_f32_e32 v1, v11, v11
	v_fmac_f32_e32 v1, v12, v12
	v_fmac_f32_e32 v1, v13, v13
	;; [unrolled: 5-line block ×4, first 2 shown]
	s_andn2_b64 exec, exec, s[16:17]
	s_cbranch_execnz .LBB30_13
; %bb.14:
	s_or_b64 exec, exec, s[16:17]
.LBB30_15:
	s_or_b64 exec, exec, s[14:15]
	v_lshl_add_u32 v2, s22, 4, v0
	v_cmp_gt_i32_e32 vcc, s21, v2
	s_and_saveexec_b64 s[14:15], vcc
	s_cbranch_execz .LBB30_19
; %bb.16:
	s_add_u32 s16, s8, s0
	s_addc_u32 s17, s9, s1
	s_add_u32 s16, s16, s10
	s_addc_u32 s17, s17, s11
	s_lshl_b64 s[12:13], s[12:13], 2
	s_add_u32 s12, s16, s12
	s_addc_u32 s13, s17, s13
	v_ashrrev_i32_e32 v3, 31, v2
	s_add_u32 s12, s2, s12
	v_lshlrev_b64 v[4:5], 2, v[2:3]
	s_addc_u32 s13, s3, s13
	v_mov_b32_e32 v3, s13
	v_add_co_u32_e32 v4, vcc, s12, v4
	s_mov_b32 s17, 0
	v_addc_co_u32_e32 v5, vcc, v3, v5, vcc
	s_lshl_b32 s16, s20, 2
	s_mov_b64 s[12:13], 0
	v_mov_b32_e32 v3, s17
.LBB30_17:                              ; =>This Inner Loop Header: Depth=1
	global_load_dword v6, v[4:5], off
	v_add_co_u32_e32 v4, vcc, s16, v4
	v_add_u32_e32 v2, s20, v2
	v_addc_co_u32_e32 v5, vcc, v5, v3, vcc
	v_cmp_le_i32_e32 vcc, s21, v2
	s_or_b64 s[12:13], vcc, s[12:13]
	s_waitcnt vmcnt(0)
	v_fmac_f32_e32 v1, v6, v6
	s_andn2_b64 exec, exec, s[12:13]
	s_cbranch_execnz .LBB30_17
; %bb.18:
	s_or_b64 exec, exec, s[12:13]
.LBB30_19:
	s_or_b64 exec, exec, s[14:15]
	s_branch .LBB30_26
.LBB30_20:
                                        ; implicit-def: $vgpr1
	s_cbranch_execz .LBB30_26
; %bb.21:
	s_ashr_i32 s14, s7, 4
	v_cmp_gt_i32_e32 vcc, s14, v0
	v_mov_b32_e32 v1, 0
	s_and_saveexec_b64 s[12:13], vcc
	s_cbranch_execz .LBB30_25
; %bb.22:
	s_add_u32 s0, s8, s0
	s_addc_u32 s1, s9, s1
	s_add_u32 s0, s0, s10
	s_addc_u32 s1, s1, s11
	s_add_u32 s0, s2, s0
	v_lshlrev_b32_e32 v1, 6, v0
	s_addc_u32 s1, s3, s1
	s_mov_b32 s8, 0
	v_mov_b32_e32 v3, s1
	v_add_co_u32_e32 v2, vcc, s0, v1
	v_addc_co_u32_e32 v3, vcc, 0, v3, vcc
	s_lshl_b32 s2, s20, 6
	s_mov_b64 s[0:1], 0
	v_mov_b32_e32 v1, 0
	v_mov_b32_e32 v4, s8
	v_mov_b32_e32 v5, v0
.LBB30_23:                              ; =>This Inner Loop Header: Depth=1
	global_load_dwordx4 v[6:9], v[2:3], off
	global_load_dwordx4 v[10:13], v[2:3], off offset:16
	global_load_dwordx4 v[14:17], v[2:3], off offset:32
	;; [unrolled: 1-line block ×3, first 2 shown]
	v_add_co_u32_e32 v2, vcc, s2, v2
	v_add_u32_e32 v5, s20, v5
	v_addc_co_u32_e32 v3, vcc, v3, v4, vcc
	v_cmp_le_i32_e32 vcc, s14, v5
	s_or_b64 s[0:1], vcc, s[0:1]
	s_waitcnt vmcnt(3)
	v_fmac_f32_e32 v1, v6, v6
	v_fmac_f32_e32 v1, v7, v7
	v_fmac_f32_e32 v1, v8, v8
	v_fmac_f32_e32 v1, v9, v9
	s_waitcnt vmcnt(2)
	v_fmac_f32_e32 v1, v10, v10
	v_fmac_f32_e32 v1, v11, v11
	v_fmac_f32_e32 v1, v12, v12
	v_fmac_f32_e32 v1, v13, v13
	;; [unrolled: 5-line block ×4, first 2 shown]
	s_andn2_b64 exec, exec, s[0:1]
	s_cbranch_execnz .LBB30_23
; %bb.24:
	s_or_b64 exec, exec, s[0:1]
.LBB30_25:
	s_or_b64 exec, exec, s[12:13]
.LBB30_26:
	v_mbcnt_lo_u32_b32 v2, -1, 0
	v_mbcnt_hi_u32_b32 v2, -1, v2
	v_and_b32_e32 v3, 63, v2
	v_cmp_ne_u32_e32 vcc, 63, v3
	v_addc_co_u32_e32 v4, vcc, 0, v2, vcc
	v_lshlrev_b32_e32 v4, 2, v4
	ds_bpermute_b32 v4, v4, v1
	v_and_b32_e32 v5, 0x3c0, v0
	v_sub_u32_e64 v5, s20, v5 clamp
	v_add_u32_e32 v6, 1, v2
	v_cmp_lt_u32_e32 vcc, v6, v5
	s_waitcnt lgkmcnt(0)
	v_add_f32_e32 v4, v1, v4
	v_cndmask_b32_e32 v1, v1, v4, vcc
	v_cmp_gt_u32_e32 vcc, 62, v3
	v_cndmask_b32_e64 v4, 0, 1, vcc
	v_lshlrev_b32_e32 v4, 1, v4
	v_add_lshl_u32 v4, v4, v2, 2
	ds_bpermute_b32 v4, v4, v1
	v_add_u32_e32 v6, 2, v2
	v_cmp_lt_u32_e32 vcc, v6, v5
	v_add_u32_e32 v6, 4, v2
	s_waitcnt lgkmcnt(0)
	v_add_f32_e32 v4, v1, v4
	v_cndmask_b32_e32 v1, v1, v4, vcc
	v_cmp_gt_u32_e32 vcc, 60, v3
	v_cndmask_b32_e64 v4, 0, 1, vcc
	v_lshlrev_b32_e32 v4, 2, v4
	v_add_lshl_u32 v4, v4, v2, 2
	ds_bpermute_b32 v4, v4, v1
	v_cmp_lt_u32_e32 vcc, v6, v5
	v_add_u32_e32 v6, 8, v2
	s_waitcnt lgkmcnt(0)
	v_add_f32_e32 v4, v1, v4
	v_cndmask_b32_e32 v1, v1, v4, vcc
	v_cmp_gt_u32_e32 vcc, 56, v3
	v_cndmask_b32_e64 v4, 0, 1, vcc
	v_lshlrev_b32_e32 v4, 3, v4
	v_add_lshl_u32 v4, v4, v2, 2
	ds_bpermute_b32 v4, v4, v1
	;; [unrolled: 10-line block ×3, first 2 shown]
	v_cmp_lt_u32_e32 vcc, v6, v5
	s_waitcnt lgkmcnt(0)
	v_add_f32_e32 v4, v1, v4
	v_cndmask_b32_e32 v1, v1, v4, vcc
	v_cmp_gt_u32_e32 vcc, 32, v3
	v_cndmask_b32_e64 v3, 0, 1, vcc
	v_lshlrev_b32_e32 v3, 5, v3
	v_add_lshl_u32 v3, v3, v2, 2
	ds_bpermute_b32 v3, v3, v1
	v_add_u32_e32 v4, 32, v2
	v_cmp_lt_u32_e32 vcc, v4, v5
	s_waitcnt lgkmcnt(0)
	v_add_f32_e32 v3, v1, v3
	v_cndmask_b32_e32 v1, v1, v3, vcc
	v_cmp_eq_u32_e32 vcc, 0, v2
	s_and_saveexec_b64 s[0:1], vcc
	s_cbranch_execz .LBB30_28
; %bb.27:
	v_lshrrev_b32_e32 v3, 4, v0
	v_and_b32_e32 v3, 60, v3
	ds_write_b32 v3, v1
.LBB30_28:
	s_or_b64 exec, exec, s[0:1]
	v_cmp_gt_u32_e32 vcc, 16, v0
	s_waitcnt lgkmcnt(0)
	s_barrier
	s_and_saveexec_b64 s[2:3], vcc
	s_cbranch_execz .LBB30_30
; %bb.29:
	v_lshlrev_b32_e32 v1, 2, v2
	ds_read_b32 v1, v1
	v_and_b32_e32 v3, 15, v2
	v_cmp_ne_u32_e32 vcc, 15, v3
	v_addc_co_u32_e32 v4, vcc, 0, v2, vcc
	v_lshlrev_b32_e32 v4, 2, v4
	s_waitcnt lgkmcnt(0)
	ds_bpermute_b32 v4, v4, v1
	s_add_i32 s0, s20, 63
	s_lshr_b32 s8, s0, 6
	v_add_u32_e32 v5, 1, v3
	v_cmp_gt_u32_e64 s[0:1], 14, v3
	v_cmp_gt_u32_e32 vcc, s8, v5
	v_cndmask_b32_e64 v5, 0, 1, s[0:1]
	s_waitcnt lgkmcnt(0)
	v_add_f32_e32 v4, v1, v4
	v_lshlrev_b32_e32 v5, 1, v5
	v_cndmask_b32_e32 v4, v1, v4, vcc
	v_add_lshl_u32 v5, v5, v2, 2
	ds_bpermute_b32 v5, v5, v4
	v_add_u32_e32 v6, 2, v3
	v_cmp_gt_u32_e64 s[0:1], s8, v6
	v_add_u32_e32 v6, 4, v3
	s_waitcnt lgkmcnt(0)
	v_add_f32_e32 v5, v4, v5
	v_cndmask_b32_e64 v4, v4, v5, s[0:1]
	v_cmp_gt_u32_e64 s[0:1], 12, v3
	v_cndmask_b32_e64 v5, 0, 1, s[0:1]
	v_lshlrev_b32_e32 v5, 2, v5
	v_add_lshl_u32 v5, v5, v2, 2
	ds_bpermute_b32 v5, v5, v4
	v_cmp_gt_u32_e64 s[0:1], s8, v6
	s_waitcnt lgkmcnt(0)
	v_add_f32_e32 v5, v4, v5
	v_cndmask_b32_e64 v4, v4, v5, s[0:1]
	v_cmp_gt_u32_e64 s[0:1], 8, v3
	v_cndmask_b32_e64 v5, 0, 1, s[0:1]
	v_lshlrev_b32_e32 v5, 3, v5
	v_add_lshl_u32 v2, v5, v2, 2
	ds_bpermute_b32 v2, v2, v4
	v_add_u32_e32 v3, 8, v3
	v_cmp_gt_u32_e64 s[0:1], s8, v3
	s_waitcnt lgkmcnt(0)
	v_add_f32_e32 v2, v4, v2
	v_cndmask_b32_e64 v2, v4, v2, s[0:1]
	v_cndmask_b32_e32 v1, v1, v2, vcc
.LBB30_30:
	s_or_b64 exec, exec, s[2:3]
	v_cmp_eq_u32_e32 vcc, 0, v0
	s_and_saveexec_b64 s[0:1], vcc
	s_cbranch_execz .LBB30_32
; %bb.31:
	v_cvt_f32_i32_e32 v2, s7
	s_load_dword s8, s[4:5], 0x40
	v_div_scale_f32 v3, s[2:3], v2, v2, v1
	v_rcp_f32_e32 v4, v3
	v_div_scale_f32 v5, vcc, v1, v2, v1
	s_mov_b32 s2, 0x800000
	v_fma_f32 v6, -v3, v4, 1.0
	v_fmac_f32_e32 v4, v6, v4
	v_mul_f32_e32 v6, v5, v4
	v_fma_f32 v7, -v3, v6, v5
	v_fmac_f32_e32 v6, v7, v4
	v_fma_f32 v3, -v3, v6, v5
	v_div_fmas_f32 v3, v3, v4, v6
	v_div_fixup_f32 v1, v3, v2, v1
	s_waitcnt lgkmcnt(0)
	v_add_f32_e32 v1, s8, v1
	v_mul_f32_e32 v2, 0x4b800000, v1
	v_cmp_gt_f32_e32 vcc, s2, v1
	v_cndmask_b32_e32 v1, v1, v2, vcc
	v_rsq_f32_e32 v1, v1
	v_mul_f32_e32 v2, 0x45800000, v1
	v_cndmask_b32_e32 v1, v1, v2, vcc
	v_mov_b32_e32 v2, 0
	ds_write_b32 v2, v1 offset:64
.LBB30_32:
	s_or_b64 exec, exec, s[0:1]
	s_ashr_i32 s0, s7, 31
	s_lshr_b32 s0, s0, 28
	s_add_i32 s0, s7, s0
	s_ashr_i32 s10, s0, 4
	v_cmp_gt_i32_e32 vcc, s10, v0
	s_waitcnt lgkmcnt(0)
	s_barrier
	s_and_saveexec_b64 s[0:1], vcc
	s_cbranch_execz .LBB30_44
; %bb.33:
	v_cvt_f32_u32_e32 v1, s20
	s_load_dwordx2 s[0:1], s[4:5], 0x0
	s_load_dwordx2 s[2:3], s[4:5], 0x38
	s_mul_i32 s4, s6, s7
	s_mov_b32 s5, 0
	v_rcp_iflag_f32_e32 v1, v1
	v_mov_b32_e32 v2, 0
	s_lshl_b64 s[4:5], s[4:5], 2
	ds_read_b32 v38, v2 offset:64
	v_mul_f32_e32 v1, 0x4f7ffffe, v1
	v_add_u32_e32 v2, s20, v0
	v_cvt_u32_f32_e32 v1, v1
	s_waitcnt lgkmcnt(0)
	s_add_u32 s11, s0, s4
	v_mov_b32_e32 v4, s20
	v_cmp_gt_i32_e32 vcc, s10, v2
	s_addc_u32 s12, s1, s5
	v_max_i32_e32 v3, s10, v2
	v_addc_co_u32_e64 v2, s[0:1], v0, v4, vcc
	s_sub_i32 s0, 0, s20
	v_sub_u32_e32 v2, v3, v2
	v_mul_lo_u32 v3, s0, v1
	v_mul_hi_u32 v3, v1, v3
	v_add_u32_e32 v1, v1, v3
	v_mul_hi_u32 v1, v2, v1
	v_mul_lo_u32 v3, v1, s20
	v_sub_u32_e32 v2, v2, v3
	v_add_u32_e32 v3, 1, v1
	v_cmp_le_u32_e64 s[0:1], s20, v2
	v_cndmask_b32_e64 v1, v1, v3, s[0:1]
	v_subrev_u32_e32 v3, s20, v2
	v_cndmask_b32_e64 v2, v2, v3, s[0:1]
	v_add_u32_e32 v3, 1, v1
	v_cmp_le_u32_e64 s[0:1], s20, v2
	v_cndmask_b32_e64 v1, v1, v3, s[0:1]
	v_addc_co_u32_e32 v72, vcc, 1, v1, vcc
	s_cmp_lg_u32 s20, 1
	v_cmp_gt_u32_e32 vcc, 2, v72
	s_cselect_b64 s[0:1], -1, 0
	s_or_b64 s[0:1], vcc, s[0:1]
	s_mov_b64 s[4:5], 0
	s_and_saveexec_b64 s[6:7], s[0:1]
	s_xor_b64 s[0:1], exec, s[6:7]
	s_cbranch_execnz .LBB30_38
; %bb.34:
	s_andn2_saveexec_b64 s[6:7], s[0:1]
	s_cbranch_execnz .LBB30_39
.LBB30_35:
	s_or_b64 exec, exec, s[6:7]
	s_and_b64 exec, exec, s[4:5]
	s_cbranch_execnz .LBB30_42
	s_branch .LBB30_44
.LBB30_36:
                                        ; implicit-def: $sgpr16_sgpr17
	s_branch .LBB30_2
.LBB30_37:
                                        ; implicit-def: $sgpr20_sgpr21
	s_branch .LBB30_5
.LBB30_38:
	s_mov_b64 s[4:5], exec
                                        ; implicit-def: $vgpr72
	s_andn2_saveexec_b64 s[6:7], s[0:1]
	s_cbranch_execz .LBB30_35
.LBB30_39:
	v_and_b32_e32 v73, -2, v72
	v_add_u32_e32 v1, 1, v0
	v_mov_b32_e32 v39, v38
	s_mov_b64 s[8:9], 0
	v_mov_b32_e32 v74, s19
	v_mov_b32_e32 v75, s3
	;; [unrolled: 1-line block ×5, first 2 shown]
	v_pk_mov_b32 v[42:43], v[0:1], v[0:1] op_sel:[0,1]
.LBB30_40:                              ; =>This Inner Loop Header: Depth=1
	v_mov_b32_e32 v40, v42
	v_lshlrev_b64 v[44:45], 6, v[40:41]
	v_add_co_u32_e32 v2, vcc, s18, v44
	v_addc_co_u32_e32 v3, vcc, v74, v45, vcc
	v_mov_b32_e32 v40, v43
	v_add_co_u32_e32 v4, vcc, s2, v44
	v_lshlrev_b64 v[46:47], 6, v[40:41]
	v_addc_co_u32_e32 v5, vcc, v75, v45, vcc
	v_add_co_u32_e32 v26, vcc, s18, v46
	global_load_dwordx4 v[14:17], v[2:3], off offset:16
	global_load_dwordx4 v[10:13], v[2:3], off
	v_addc_co_u32_e32 v27, vcc, v74, v47, vcc
	v_add_co_u32_e32 v48, vcc, s2, v46
	v_addc_co_u32_e32 v49, vcc, v75, v47, vcc
	global_load_dwordx4 v[22:25], v[4:5], off offset:16
	global_load_dwordx4 v[34:37], v[4:5], off
	global_load_dwordx4 v[66:69], v[2:3], off offset:48
	global_load_dwordx4 v[62:65], v[2:3], off offset:32
	global_load_dwordx4 v[78:81], v[4:5], off offset:32
	global_load_dwordx4 v[82:85], v[4:5], off offset:48
	global_load_dwordx4 v[28:31], v[26:27], off
	global_load_dwordx4 v[56:59], v[48:49], off
                                        ; kill: killed $vgpr4 killed $vgpr5
                                        ; kill: killed $vgpr2 killed $vgpr3
	global_load_dwordx4 v[18:21], v[26:27], off offset:16
	global_load_dwordx4 v[6:9], v[48:49], off offset:16
	v_add_u32_e32 v77, -2, v77
	v_cmp_eq_u32_e32 vcc, 0, v77
	v_add_co_u32_e64 v44, s[0:1], s11, v44
	v_add_u32_e32 v42, 2, v42
	v_add_u32_e32 v43, 2, v43
	v_addc_co_u32_e64 v45, s[0:1], v76, v45, s[0:1]
	s_or_b64 s[8:9], vcc, s[8:9]
	v_add_co_u32_e32 v46, vcc, s11, v46
	v_addc_co_u32_e32 v47, vcc, v76, v47, vcc
	s_waitcnt vmcnt(8)
	v_mov_b32_e32 v50, v34
	v_mov_b32_e32 v34, v36
	v_mov_b32_e32 v36, v22
	v_mov_b32_e32 v52, v10
	v_mov_b32_e32 v54, v12
	s_waitcnt vmcnt(3)
	v_mov_b32_e32 v53, v28
	v_mov_b32_e32 v28, v11
	;; [unrolled: 1-line block ×4, first 2 shown]
	s_waitcnt vmcnt(2)
	v_mov_b32_e32 v51, v56
	v_mov_b32_e32 v56, v35
	;; [unrolled: 1-line block ×4, first 2 shown]
	v_pk_mul_f32 v[2:3], v[28:29], v[38:39]
	v_pk_mul_f32 v[4:5], v[30:31], v[38:39]
	global_load_dwordx4 v[30:33], v[26:27], off offset:32
	s_nop 0
	global_load_dwordx4 v[26:29], v[26:27], off offset:48
	v_pk_mul_f32 v[2:3], v[2:3], v[56:57]
	v_pk_mul_f32 v[4:5], v[4:5], v[58:59]
	global_load_dwordx4 v[10:13], v[48:49], off offset:32
	v_mov_b32_e32 v58, v14
	v_mov_b32_e32 v56, v16
	s_waitcnt vmcnt(4)
	v_mov_b32_e32 v59, v18
	v_mov_b32_e32 v18, v15
	;; [unrolled: 1-line block ×4, first 2 shown]
	global_load_dwordx4 v[14:17], v[48:49], off offset:48
	v_mov_b32_e32 v22, v24
	s_waitcnt vmcnt(4)
	v_mov_b32_e32 v37, v6
	v_mov_b32_e32 v6, v23
	;; [unrolled: 1-line block ×8, first 2 shown]
	v_pk_mul_f32 v[52:53], v[52:53], v[38:39]
	v_pk_mul_f32 v[54:55], v[54:55], v[38:39]
	v_mov_b32_e32 v48, v78
	v_mov_b32_e32 v68, v80
	;; [unrolled: 1-line block ×4, first 2 shown]
	v_pk_mul_f32 v[18:19], v[18:19], v[38:39]
	v_pk_mul_f32 v[20:21], v[20:21], v[38:39]
	;; [unrolled: 1-line block ×10, first 2 shown]
	v_mov_b32_e32 v18, v50
	v_mov_b32_e32 v19, v2
	;; [unrolled: 1-line block ×9, first 2 shown]
	s_waitcnt vmcnt(3)
	v_mov_b32_e32 v61, v30
	v_mov_b32_e32 v30, v63
	v_mov_b32_e32 v25, v32
	v_mov_b32_e32 v32, v65
	s_waitcnt vmcnt(2)
	v_mov_b32_e32 v65, v26
	v_mov_b32_e32 v26, v67
	v_mov_b32_e32 v63, v28
	v_mov_b32_e32 v28, v69
	;; [unrolled: 5-line block ×4, first 2 shown]
	v_pk_mul_f32 v[30:31], v[30:31], v[38:39]
	v_pk_mul_f32 v[32:33], v[32:33], v[38:39]
	;; [unrolled: 1-line block ×16, first 2 shown]
	v_mov_b32_e32 v24, v52
	v_mov_b32_e32 v25, v8
	;; [unrolled: 1-line block ×15, first 2 shown]
	global_store_dwordx4 v[44:45], v[18:21], off
	global_store_dwordx4 v[46:47], v[2:5], off
	global_store_dwordx4 v[44:45], v[22:25], off offset:16
	global_store_dwordx4 v[46:47], v[6:9], off offset:16
	;; [unrolled: 1-line block ×6, first 2 shown]
	s_andn2_b64 exec, exec, s[8:9]
	s_cbranch_execnz .LBB30_40
; %bb.41:
	s_or_b64 exec, exec, s[8:9]
	v_cmp_ne_u32_e32 vcc, v72, v73
	s_andn2_b64 s[0:1], s[4:5], exec
	s_and_b64 s[4:5], vcc, exec
	v_add_u32_e32 v0, v0, v73
	s_or_b64 s[4:5], s[0:1], s[4:5]
	s_or_b64 exec, exec, s[6:7]
	s_and_b64 exec, exec, s[4:5]
	s_cbranch_execz .LBB30_44
.LBB30_42:
	v_mov_b32_e32 v1, 0
	v_mov_b32_e32 v39, v38
	v_lshlrev_b64 v[2:3], 6, v[0:1]
	s_lshl_b32 s6, s20, 6
	s_mov_b64 s[4:5], 0
.LBB30_43:                              ; =>This Inner Loop Header: Depth=1
	v_mov_b32_e32 v1, s19
	v_add_co_u32_e64 v40, s[0:1], s18, v2
	v_mov_b32_e32 v4, s3
	v_add_co_u32_e32 v36, vcc, s2, v2
	v_addc_co_u32_e64 v41, s[0:1], v1, v3, s[0:1]
	v_addc_co_u32_e32 v37, vcc, v4, v3, vcc
	global_load_dwordx4 v[4:7], v[40:41], off
	global_load_dwordx4 v[8:11], v[40:41], off offset:16
	global_load_dwordx4 v[12:15], v[40:41], off offset:32
	;; [unrolled: 1-line block ×3, first 2 shown]
	global_load_dwordx4 v[20:23], v[36:37], off
	global_load_dwordx4 v[24:27], v[36:37], off offset:16
	global_load_dwordx4 v[28:31], v[36:37], off offset:32
	;; [unrolled: 1-line block ×3, first 2 shown]
	v_add_co_u32_e32 v36, vcc, s11, v2
	s_add_u32 s11, s11, s6
	v_mov_b32_e32 v1, s12
	s_addc_u32 s12, s12, 0
	s_add_u32 s18, s18, s6
	s_addc_u32 s19, s19, 0
	v_add_u32_e32 v0, s20, v0
	v_addc_co_u32_e32 v37, vcc, v1, v3, vcc
	s_add_u32 s2, s2, s6
	v_cmp_le_i32_e32 vcc, s10, v0
	s_addc_u32 s3, s3, 0
	s_or_b64 s[4:5], vcc, s[4:5]
	s_waitcnt vmcnt(7)
	v_pk_mul_f32 v[4:5], v[4:5], v[38:39]
	v_pk_mul_f32 v[6:7], v[6:7], v[38:39]
	s_waitcnt vmcnt(6)
	v_pk_mul_f32 v[8:9], v[8:9], v[38:39]
	v_pk_mul_f32 v[10:11], v[10:11], v[38:39]
	;; [unrolled: 3-line block ×8, first 2 shown]
	global_store_dwordx4 v[36:37], v[4:7], off
	global_store_dwordx4 v[36:37], v[8:11], off offset:16
	global_store_dwordx4 v[36:37], v[12:15], off offset:32
	;; [unrolled: 1-line block ×3, first 2 shown]
	s_andn2_b64 exec, exec, s[4:5]
	s_cbranch_execnz .LBB30_43
.LBB30_44:
	s_endpgm
	.section	.rodata,"a",@progbits
	.p2align	6, 0x0
	.amdhsa_kernel _ZN4vllm15rms_norm_kernelIfLi16ELi4EEEvPT_PKS1_lllllS4_fii
		.amdhsa_group_segment_fixed_size 68
		.amdhsa_private_segment_fixed_size 0
		.amdhsa_kernarg_size 336
		.amdhsa_user_sgpr_count 6
		.amdhsa_user_sgpr_private_segment_buffer 1
		.amdhsa_user_sgpr_dispatch_ptr 0
		.amdhsa_user_sgpr_queue_ptr 0
		.amdhsa_user_sgpr_kernarg_segment_ptr 1
		.amdhsa_user_sgpr_dispatch_id 0
		.amdhsa_user_sgpr_flat_scratch_init 0
		.amdhsa_user_sgpr_kernarg_preload_length 0
		.amdhsa_user_sgpr_kernarg_preload_offset 0
		.amdhsa_user_sgpr_private_segment_size 0
		.amdhsa_uses_dynamic_stack 0
		.amdhsa_system_sgpr_private_segment_wavefront_offset 0
		.amdhsa_system_sgpr_workgroup_id_x 1
		.amdhsa_system_sgpr_workgroup_id_y 0
		.amdhsa_system_sgpr_workgroup_id_z 0
		.amdhsa_system_sgpr_workgroup_info 0
		.amdhsa_system_vgpr_workitem_id 0
		.amdhsa_next_free_vgpr 86
		.amdhsa_next_free_sgpr 35
		.amdhsa_accum_offset 88
		.amdhsa_reserve_vcc 1
		.amdhsa_reserve_flat_scratch 0
		.amdhsa_float_round_mode_32 0
		.amdhsa_float_round_mode_16_64 0
		.amdhsa_float_denorm_mode_32 3
		.amdhsa_float_denorm_mode_16_64 3
		.amdhsa_dx10_clamp 1
		.amdhsa_ieee_mode 1
		.amdhsa_fp16_overflow 0
		.amdhsa_tg_split 0
		.amdhsa_exception_fp_ieee_invalid_op 0
		.amdhsa_exception_fp_denorm_src 0
		.amdhsa_exception_fp_ieee_div_zero 0
		.amdhsa_exception_fp_ieee_overflow 0
		.amdhsa_exception_fp_ieee_underflow 0
		.amdhsa_exception_fp_ieee_inexact 0
		.amdhsa_exception_int_div_zero 0
	.end_amdhsa_kernel
	.section	.text._ZN4vllm15rms_norm_kernelIfLi16ELi4EEEvPT_PKS1_lllllS4_fii,"axG",@progbits,_ZN4vllm15rms_norm_kernelIfLi16ELi4EEEvPT_PKS1_lllllS4_fii,comdat
.Lfunc_end30:
	.size	_ZN4vllm15rms_norm_kernelIfLi16ELi4EEEvPT_PKS1_lllllS4_fii, .Lfunc_end30-_ZN4vllm15rms_norm_kernelIfLi16ELi4EEEvPT_PKS1_lllllS4_fii
                                        ; -- End function
	.section	.AMDGPU.csdata,"",@progbits
; Kernel info:
; codeLenInByte = 4816
; NumSgprs: 39
; NumVgprs: 86
; NumAgprs: 0
; TotalNumVgprs: 86
; ScratchSize: 0
; MemoryBound: 0
; FloatMode: 240
; IeeeMode: 1
; LDSByteSize: 68 bytes/workgroup (compile time only)
; SGPRBlocks: 4
; VGPRBlocks: 10
; NumSGPRsForWavesPerEU: 39
; NumVGPRsForWavesPerEU: 86
; AccumOffset: 88
; Occupancy: 5
; WaveLimiterHint : 0
; COMPUTE_PGM_RSRC2:SCRATCH_EN: 0
; COMPUTE_PGM_RSRC2:USER_SGPR: 6
; COMPUTE_PGM_RSRC2:TRAP_HANDLER: 0
; COMPUTE_PGM_RSRC2:TGID_X_EN: 1
; COMPUTE_PGM_RSRC2:TGID_Y_EN: 0
; COMPUTE_PGM_RSRC2:TGID_Z_EN: 0
; COMPUTE_PGM_RSRC2:TIDIG_COMP_CNT: 0
; COMPUTE_PGM_RSRC3_GFX90A:ACCUM_OFFSET: 21
; COMPUTE_PGM_RSRC3_GFX90A:TG_SPLIT: 0
	.section	.text._ZN4vllm15rms_norm_kernelIfLi8ELi4EEEvPT_PKS1_lllllS4_fii,"axG",@progbits,_ZN4vllm15rms_norm_kernelIfLi8ELi4EEEvPT_PKS1_lllllS4_fii,comdat
	.protected	_ZN4vllm15rms_norm_kernelIfLi8ELi4EEEvPT_PKS1_lllllS4_fii ; -- Begin function _ZN4vllm15rms_norm_kernelIfLi8ELi4EEEvPT_PKS1_lllllS4_fii
	.globl	_ZN4vllm15rms_norm_kernelIfLi8ELi4EEEvPT_PKS1_lllllS4_fii
	.p2align	8
	.type	_ZN4vllm15rms_norm_kernelIfLi8ELi4EEEvPT_PKS1_lllllS4_fii,@function
_ZN4vllm15rms_norm_kernelIfLi8ELi4EEEvPT_PKS1_lllllS4_fii: ; @_ZN4vllm15rms_norm_kernelIfLi8ELi4EEEvPT_PKS1_lllllS4_fii
; %bb.0:
	s_load_dwordx8 s[8:15], s[4:5], 0x10
	s_load_dwordx2 s[2:3], s[4:5], 0x30
	s_mov_b32 s0, 0
	s_waitcnt lgkmcnt(0)
	s_mul_i32 s1, s2, s15
	s_mul_hi_u32 s7, s2, s14
	s_add_i32 s1, s7, s1
	s_mul_i32 s3, s3, s14
	s_add_i32 s1, s1, s3
	s_cmp_lg_u64 s[0:1], 0
	s_mul_i32 s7, s2, s14
	s_cbranch_scc0 .LBB31_36
; %bb.1:
	s_ashr_i32 s2, s1, 31
	s_add_u32 s0, s7, s2
	s_mov_b32 s3, s2
	s_addc_u32 s1, s1, s2
	s_xor_b64 s[16:17], s[0:1], s[2:3]
	v_cvt_f32_u32_e32 v1, s16
	v_cvt_f32_u32_e32 v2, s17
	s_sub_u32 s0, 0, s16
	s_subb_u32 s1, 0, s17
	v_madmk_f32 v1, v2, 0x4f800000, v1
	v_rcp_f32_e32 v1, v1
	v_mul_f32_e32 v1, 0x5f7ffffc, v1
	v_mul_f32_e32 v2, 0x2f800000, v1
	v_trunc_f32_e32 v2, v2
	v_madmk_f32 v1, v2, 0xcf800000, v1
	v_cvt_u32_f32_e32 v2, v2
	v_cvt_u32_f32_e32 v1, v1
	v_readfirstlane_b32 s20, v2
	v_readfirstlane_b32 s21, v1
	s_mul_i32 s22, s0, s20
	s_mul_hi_u32 s24, s0, s21
	s_mul_i32 s23, s1, s21
	s_add_i32 s22, s24, s22
	s_add_i32 s22, s22, s23
	s_mul_i32 s25, s0, s21
	s_mul_hi_u32 s23, s21, s22
	s_mul_i32 s24, s21, s22
	s_mul_hi_u32 s21, s21, s25
	s_add_u32 s21, s21, s24
	s_addc_u32 s23, 0, s23
	s_mul_hi_u32 s26, s20, s25
	s_mul_i32 s25, s20, s25
	s_add_u32 s21, s21, s25
	s_mul_hi_u32 s24, s20, s22
	s_addc_u32 s21, s23, s26
	s_addc_u32 s23, s24, 0
	s_mul_i32 s22, s20, s22
	s_add_u32 s21, s21, s22
	s_addc_u32 s22, 0, s23
	v_add_co_u32_e32 v1, vcc, s21, v1
	s_cmp_lg_u64 vcc, 0
	s_addc_u32 s20, s20, s22
	v_readfirstlane_b32 s22, v1
	s_mul_i32 s21, s0, s20
	s_mul_hi_u32 s23, s0, s22
	s_add_i32 s21, s23, s21
	s_mul_i32 s1, s1, s22
	s_add_i32 s21, s21, s1
	s_mul_i32 s0, s0, s22
	s_mul_hi_u32 s23, s20, s0
	s_mul_i32 s24, s20, s0
	s_mul_i32 s26, s22, s21
	s_mul_hi_u32 s0, s22, s0
	s_mul_hi_u32 s25, s22, s21
	s_add_u32 s0, s0, s26
	s_addc_u32 s22, 0, s25
	s_add_u32 s0, s0, s24
	s_mul_hi_u32 s1, s20, s21
	s_addc_u32 s0, s22, s23
	s_addc_u32 s1, s1, 0
	s_mul_i32 s21, s20, s21
	s_add_u32 s0, s0, s21
	s_addc_u32 s1, 0, s1
	v_add_co_u32_e32 v1, vcc, s0, v1
	s_cmp_lg_u64 vcc, 0
	s_addc_u32 s0, s20, s1
	v_readfirstlane_b32 s20, v1
	s_mul_hi_u32 s1, s6, s0
	s_mul_i32 s0, s6, s0
	s_mul_hi_u32 s20, s6, s20
	s_add_u32 s0, s20, s0
	s_addc_u32 s1, 0, s1
	s_add_u32 s0, s0, 0
	s_addc_u32 s0, s1, 0
	s_addc_u32 s1, 0, 0
	s_add_u32 s20, s0, 0
	s_addc_u32 s21, 0, s1
	s_mul_i32 s0, s16, s21
	s_mul_hi_u32 s1, s16, s20
	s_add_i32 s0, s1, s0
	s_mul_i32 s1, s17, s20
	s_add_i32 s22, s0, s1
	s_mul_i32 s1, s16, s20
	v_mov_b32_e32 v1, s1
	s_sub_i32 s0, 0, s22
	v_sub_co_u32_e32 v1, vcc, s6, v1
	s_cmp_lg_u64 vcc, 0
	s_subb_u32 s23, s0, s17
	v_subrev_co_u32_e64 v2, s[0:1], s16, v1
	s_cmp_lg_u64 s[0:1], 0
	s_subb_u32 s0, s23, 0
	s_cmp_ge_u32 s0, s17
	v_readfirstlane_b32 s23, v2
	s_cselect_b32 s1, -1, 0
	s_cmp_ge_u32 s23, s16
	s_cselect_b32 s23, -1, 0
	s_cmp_eq_u32 s0, s17
	s_cselect_b32 s0, s23, s1
	s_add_u32 s1, s20, 1
	s_addc_u32 s23, s21, 0
	s_add_u32 s24, s20, 2
	s_addc_u32 s25, s21, 0
	s_cmp_lg_u32 s0, 0
	s_cselect_b32 s0, s24, s1
	s_cselect_b32 s1, s25, s23
	s_cmp_lg_u64 vcc, 0
	s_subb_u32 s22, 0, s22
	s_cmp_ge_u32 s22, s17
	v_readfirstlane_b32 s24, v1
	s_cselect_b32 s23, -1, 0
	s_cmp_ge_u32 s24, s16
	s_cselect_b32 s16, -1, 0
	s_cmp_eq_u32 s22, s17
	s_cselect_b32 s16, s16, s23
	s_cmp_lg_u32 s16, 0
	s_cselect_b32 s1, s1, s21
	s_cselect_b32 s0, s0, s20
	s_xor_b64 s[0:1], s[0:1], s[2:3]
	s_sub_u32 s16, s0, s2
	s_subb_u32 s17, s1, s2
	s_cbranch_execnz .LBB31_3
.LBB31_2:
	v_cvt_f32_u32_e32 v1, s7
	s_sub_i32 s0, 0, s7
	s_mov_b32 s17, 0
	v_rcp_iflag_f32_e32 v1, v1
	v_mul_f32_e32 v1, 0x4f7ffffe, v1
	v_cvt_u32_f32_e32 v1, v1
	v_readfirstlane_b32 s1, v1
	s_mul_i32 s0, s0, s1
	s_mul_hi_u32 s0, s1, s0
	s_add_i32 s1, s1, s0
	s_mul_hi_u32 s0, s6, s1
	s_mul_i32 s2, s0, s7
	s_sub_i32 s2, s6, s2
	s_add_i32 s1, s0, 1
	s_sub_i32 s3, s2, s7
	s_cmp_ge_u32 s2, s7
	s_cselect_b32 s0, s1, s0
	s_cselect_b32 s2, s3, s2
	s_add_i32 s1, s0, 1
	s_cmp_ge_u32 s2, s7
	s_cselect_b32 s16, s1, s0
.LBB31_3:
	s_mul_i32 s0, s16, s7
	s_load_dwordx2 s[2:3], s[4:5], 0x8
	s_sub_i32 s18, s6, s0
	s_ashr_i32 s19, s18, 31
	s_or_b64 s[0:1], s[18:19], s[14:15]
	s_mov_b32 s0, 0
	s_cmp_lg_u64 s[0:1], 0
	s_cbranch_scc0 .LBB31_37
; %bb.4:
	s_ashr_i32 s20, s15, 31
	s_add_u32 s0, s14, s20
	s_mov_b32 s21, s20
	s_addc_u32 s1, s15, s20
	s_xor_b64 s[24:25], s[0:1], s[20:21]
	v_cvt_f32_u32_e32 v1, s24
	v_cvt_f32_u32_e32 v2, s25
	s_sub_u32 s0, 0, s24
	s_subb_u32 s1, 0, s25
	v_madmk_f32 v1, v2, 0x4f800000, v1
	v_rcp_f32_e32 v1, v1
	v_mul_f32_e32 v1, 0x5f7ffffc, v1
	v_mul_f32_e32 v2, 0x2f800000, v1
	v_trunc_f32_e32 v2, v2
	v_madmk_f32 v1, v2, 0xcf800000, v1
	v_cvt_u32_f32_e32 v2, v2
	v_cvt_u32_f32_e32 v1, v1
	v_readfirstlane_b32 s7, v2
	v_readfirstlane_b32 s26, v1
	s_mul_i32 s27, s0, s7
	s_mul_hi_u32 s29, s0, s26
	s_mul_i32 s28, s1, s26
	s_add_i32 s27, s29, s27
	s_add_i32 s27, s27, s28
	s_mul_i32 s30, s0, s26
	s_mul_hi_u32 s28, s26, s27
	s_mul_i32 s29, s26, s27
	s_mul_hi_u32 s26, s26, s30
	s_add_u32 s26, s26, s29
	s_addc_u32 s28, 0, s28
	s_mul_hi_u32 s31, s7, s30
	s_mul_i32 s30, s7, s30
	s_add_u32 s26, s26, s30
	s_mul_hi_u32 s29, s7, s27
	s_addc_u32 s26, s28, s31
	s_addc_u32 s28, s29, 0
	s_mul_i32 s27, s7, s27
	s_add_u32 s26, s26, s27
	s_addc_u32 s27, 0, s28
	v_add_co_u32_e32 v1, vcc, s26, v1
	s_cmp_lg_u64 vcc, 0
	s_addc_u32 s7, s7, s27
	v_readfirstlane_b32 s27, v1
	s_mul_i32 s26, s0, s7
	s_mul_hi_u32 s28, s0, s27
	s_add_i32 s26, s28, s26
	s_mul_i32 s1, s1, s27
	s_add_i32 s26, s26, s1
	s_mul_i32 s0, s0, s27
	s_mul_hi_u32 s28, s7, s0
	s_mul_i32 s29, s7, s0
	s_mul_i32 s31, s27, s26
	s_mul_hi_u32 s0, s27, s0
	s_mul_hi_u32 s30, s27, s26
	s_add_u32 s0, s0, s31
	s_addc_u32 s27, 0, s30
	s_add_u32 s0, s0, s29
	s_mul_hi_u32 s1, s7, s26
	s_addc_u32 s0, s27, s28
	s_addc_u32 s1, s1, 0
	s_mul_i32 s26, s7, s26
	s_add_u32 s0, s0, s26
	s_addc_u32 s1, 0, s1
	v_add_co_u32_e32 v1, vcc, s0, v1
	s_cmp_lg_u64 vcc, 0
	s_addc_u32 s7, s7, s1
	s_add_u32 s0, s18, s19
	s_mov_b32 s26, s19
	s_mov_b32 s27, s19
	s_addc_u32 s1, s19, s19
	s_xor_b64 s[28:29], s[0:1], s[26:27]
	v_readfirstlane_b32 s30, v1
	s_mul_i32 s1, s28, s7
	s_mul_hi_u32 s31, s28, s30
	s_mul_hi_u32 s0, s28, s7
	s_add_u32 s1, s31, s1
	s_addc_u32 s0, 0, s0
	s_mul_hi_u32 s33, s29, s30
	s_mul_i32 s30, s29, s30
	s_add_u32 s1, s1, s30
	s_mul_hi_u32 s31, s29, s7
	s_addc_u32 s0, s0, s33
	s_addc_u32 s1, s31, 0
	s_mul_i32 s7, s29, s7
	s_add_u32 s7, s0, s7
	s_addc_u32 s30, 0, s1
	s_mul_i32 s0, s24, s30
	s_mul_hi_u32 s1, s24, s7
	s_add_i32 s0, s1, s0
	s_mul_i32 s1, s25, s7
	s_add_i32 s31, s0, s1
	s_mul_i32 s1, s24, s7
	v_mov_b32_e32 v1, s1
	s_sub_i32 s0, s29, s31
	v_sub_co_u32_e32 v1, vcc, s28, v1
	s_cmp_lg_u64 vcc, 0
	s_subb_u32 s28, s0, s25
	v_subrev_co_u32_e64 v2, s[0:1], s24, v1
	s_cmp_lg_u64 s[0:1], 0
	s_subb_u32 s0, s28, 0
	s_cmp_ge_u32 s0, s25
	v_readfirstlane_b32 s28, v2
	s_cselect_b32 s1, -1, 0
	s_cmp_ge_u32 s28, s24
	s_cselect_b32 s28, -1, 0
	s_cmp_eq_u32 s0, s25
	s_cselect_b32 s0, s28, s1
	s_add_u32 s1, s7, 1
	s_addc_u32 s28, s30, 0
	s_add_u32 s33, s7, 2
	s_addc_u32 s34, s30, 0
	s_cmp_lg_u32 s0, 0
	s_cselect_b32 s0, s33, s1
	s_cselect_b32 s1, s34, s28
	s_cmp_lg_u64 vcc, 0
	s_subb_u32 s28, s29, s31
	s_cmp_ge_u32 s28, s25
	v_readfirstlane_b32 s31, v1
	s_cselect_b32 s29, -1, 0
	s_cmp_ge_u32 s31, s24
	s_cselect_b32 s24, -1, 0
	s_cmp_eq_u32 s28, s25
	s_cselect_b32 s24, s24, s29
	s_cmp_lg_u32 s24, 0
	s_cselect_b32 s1, s1, s30
	s_cselect_b32 s0, s0, s7
	s_xor_b64 s[20:21], s[26:27], s[20:21]
	s_xor_b64 s[0:1], s[0:1], s[20:21]
	s_sub_u32 s20, s0, s20
	s_subb_u32 s21, s1, s21
	s_cbranch_execnz .LBB31_6
.LBB31_5:
	v_cvt_f32_u32_e32 v1, s14
	s_sub_i32 s0, 0, s14
	s_mov_b32 s21, 0
	v_rcp_iflag_f32_e32 v1, v1
	v_mul_f32_e32 v1, 0x4f7ffffe, v1
	v_cvt_u32_f32_e32 v1, v1
	v_readfirstlane_b32 s1, v1
	s_mul_i32 s0, s0, s1
	s_mul_hi_u32 s0, s1, s0
	s_add_i32 s1, s1, s0
	s_mul_hi_u32 s0, s18, s1
	s_mul_i32 s7, s0, s14
	s_sub_i32 s7, s18, s7
	s_add_i32 s1, s0, 1
	s_sub_i32 s20, s7, s14
	s_cmp_ge_u32 s7, s14
	s_cselect_b32 s0, s1, s0
	s_cselect_b32 s7, s20, s7
	s_add_i32 s1, s0, 1
	s_cmp_ge_u32 s7, s14
	s_cselect_b32 s20, s1, s0
.LBB31_6:
	s_mul_i32 s0, s20, s15
	s_mul_hi_u32 s1, s20, s14
	s_add_i32 s0, s1, s0
	s_mul_i32 s1, s21, s14
	s_add_i32 s0, s0, s1
	s_mul_i32 s1, s20, s14
	s_sub_u32 s14, s18, s1
	s_subb_u32 s7, s19, s0
	s_bfe_i64 s[0:1], s[16:17], 0x200000
	s_mul_i32 s0, s16, s13
	s_mul_hi_u32 s13, s16, s12
	s_add_i32 s0, s13, s0
	s_mul_i32 s1, s1, s12
	s_add_i32 s1, s0, s1
	s_mul_i32 s0, s16, s12
	s_lshl_b64 s[0:1], s[0:1], 2
	s_waitcnt lgkmcnt(0)
	s_add_u32 s15, s2, s0
	s_addc_u32 s16, s3, s1
	s_bfe_i64 s[12:13], s[20:21], 0x200000
	s_mul_i32 s11, s20, s11
	s_mul_hi_u32 s12, s20, s10
	s_add_i32 s11, s12, s11
	s_mul_i32 s12, s13, s10
	s_add_i32 s11, s11, s12
	s_mul_i32 s10, s20, s10
	s_lshl_b64 s[10:11], s[10:11], 2
	s_add_u32 s12, s15, s10
	s_mul_i32 s9, s14, s9
	s_mul_hi_u32 s15, s14, s8
	s_addc_u32 s13, s16, s11
	s_add_i32 s9, s15, s9
	s_mul_i32 s7, s7, s8
	s_add_i32 s9, s9, s7
	s_load_dword s7, s[4:5], 0x48
	s_load_dword s15, s[4:5], 0x5c
	s_mul_i32 s8, s14, s8
	s_lshl_b64 s[8:9], s[8:9], 2
	s_add_u32 s18, s12, s8
	s_addc_u32 s19, s13, s9
	s_waitcnt lgkmcnt(0)
	s_and_b32 s20, s15, 0xffff
	s_and_b32 s12, s18, 31
	s_mov_b32 s13, 0
	s_cmp_lg_u64 s[12:13], 0
	s_cselect_b64 s[12:13], -1, 0
	s_and_b32 s14, s7, 7
	s_cmp_lg_u32 s14, 0
	s_cselect_b64 s[14:15], -1, 0
	s_or_b64 s[12:13], s[14:15], s[12:13]
	s_and_b64 vcc, exec, s[12:13]
	s_cbranch_vccz .LBB31_20
; %bb.7:
	s_sub_i32 s12, 0, s18
	s_bfe_u32 s12, s12, 0x30002
	s_min_i32 s12, s12, s7
	v_cmp_gt_i32_e32 vcc, s12, v0
	v_mov_b32_e32 v1, 0
	s_and_saveexec_b64 s[14:15], vcc
	s_cbranch_execz .LBB31_11
; %bb.8:
	s_add_u32 s13, s8, s0
	s_addc_u32 s16, s9, s1
	s_add_u32 s13, s13, s10
	s_addc_u32 s16, s16, s11
	s_add_u32 s13, s2, s13
	v_lshlrev_b32_e32 v1, 2, v0
	s_addc_u32 s16, s3, s16
	s_mov_b32 s21, 0
	v_mov_b32_e32 v3, s16
	v_add_co_u32_e32 v2, vcc, s13, v1
	v_addc_co_u32_e32 v3, vcc, 0, v3, vcc
	s_lshl_b32 s13, s20, 2
	s_mov_b64 s[16:17], 0
	v_mov_b32_e32 v1, 0
	v_mov_b32_e32 v4, s21
	;; [unrolled: 1-line block ×3, first 2 shown]
.LBB31_9:                               ; =>This Inner Loop Header: Depth=1
	global_load_dword v6, v[2:3], off
	v_add_co_u32_e32 v2, vcc, s13, v2
	v_add_u32_e32 v5, s20, v5
	v_addc_co_u32_e32 v3, vcc, v3, v4, vcc
	v_cmp_le_i32_e32 vcc, s12, v5
	s_or_b64 s[16:17], vcc, s[16:17]
	s_waitcnt vmcnt(0)
	v_fmac_f32_e32 v1, v6, v6
	s_andn2_b64 exec, exec, s[16:17]
	s_cbranch_execnz .LBB31_9
; %bb.10:
	s_or_b64 exec, exec, s[16:17]
.LBB31_11:
	s_or_b64 exec, exec, s[14:15]
	s_sub_i32 s21, s7, s12
	s_ashr_i32 s14, s21, 31
	s_lshr_b32 s14, s14, 29
	s_add_i32 s14, s21, s14
	s_ashr_i32 s22, s14, 3
	s_ashr_i32 s13, s12, 31
	v_cmp_gt_i32_e32 vcc, s22, v0
	s_and_saveexec_b64 s[14:15], vcc
	s_cbranch_execz .LBB31_15
; %bb.12:
	s_add_u32 s16, s8, s0
	s_addc_u32 s17, s9, s1
	s_add_u32 s23, s16, s10
	s_addc_u32 s24, s17, s11
	s_lshl_b64 s[16:17], s[12:13], 2
	s_add_u32 s16, s2, s16
	s_addc_u32 s17, s3, s17
	s_add_u32 s16, s16, s23
	v_lshlrev_b32_e32 v2, 5, v0
	s_addc_u32 s17, s17, s24
	s_mov_b32 s25, 0
	v_mov_b32_e32 v3, s17
	v_add_co_u32_e32 v2, vcc, s16, v2
	v_addc_co_u32_e32 v3, vcc, 0, v3, vcc
	s_lshl_b32 s23, s20, 5
	s_mov_b64 s[16:17], 0
	v_mov_b32_e32 v4, s25
	v_mov_b32_e32 v5, v0
.LBB31_13:                              ; =>This Inner Loop Header: Depth=1
	global_load_dwordx4 v[6:9], v[2:3], off
	global_load_dwordx4 v[10:13], v[2:3], off offset:16
	v_add_co_u32_e32 v2, vcc, s23, v2
	v_add_u32_e32 v5, s20, v5
	v_addc_co_u32_e32 v3, vcc, v3, v4, vcc
	v_cmp_le_i32_e32 vcc, s22, v5
	s_or_b64 s[16:17], vcc, s[16:17]
	s_waitcnt vmcnt(1)
	v_fmac_f32_e32 v1, v6, v6
	v_fmac_f32_e32 v1, v7, v7
	;; [unrolled: 1-line block ×4, first 2 shown]
	s_waitcnt vmcnt(0)
	v_fmac_f32_e32 v1, v10, v10
	v_fmac_f32_e32 v1, v11, v11
	;; [unrolled: 1-line block ×4, first 2 shown]
	s_andn2_b64 exec, exec, s[16:17]
	s_cbranch_execnz .LBB31_13
; %bb.14:
	s_or_b64 exec, exec, s[16:17]
.LBB31_15:
	s_or_b64 exec, exec, s[14:15]
	v_lshl_add_u32 v2, s22, 3, v0
	v_cmp_gt_i32_e32 vcc, s21, v2
	s_and_saveexec_b64 s[14:15], vcc
	s_cbranch_execz .LBB31_19
; %bb.16:
	s_add_u32 s16, s8, s0
	s_addc_u32 s17, s9, s1
	s_add_u32 s16, s16, s10
	s_addc_u32 s17, s17, s11
	s_lshl_b64 s[12:13], s[12:13], 2
	s_add_u32 s12, s16, s12
	s_addc_u32 s13, s17, s13
	v_ashrrev_i32_e32 v3, 31, v2
	s_add_u32 s12, s2, s12
	v_lshlrev_b64 v[4:5], 2, v[2:3]
	s_addc_u32 s13, s3, s13
	v_mov_b32_e32 v3, s13
	v_add_co_u32_e32 v4, vcc, s12, v4
	s_mov_b32 s17, 0
	v_addc_co_u32_e32 v5, vcc, v3, v5, vcc
	s_lshl_b32 s16, s20, 2
	s_mov_b64 s[12:13], 0
	v_mov_b32_e32 v3, s17
.LBB31_17:                              ; =>This Inner Loop Header: Depth=1
	global_load_dword v6, v[4:5], off
	v_add_co_u32_e32 v4, vcc, s16, v4
	v_add_u32_e32 v2, s20, v2
	v_addc_co_u32_e32 v5, vcc, v5, v3, vcc
	v_cmp_le_i32_e32 vcc, s21, v2
	s_or_b64 s[12:13], vcc, s[12:13]
	s_waitcnt vmcnt(0)
	v_fmac_f32_e32 v1, v6, v6
	s_andn2_b64 exec, exec, s[12:13]
	s_cbranch_execnz .LBB31_17
; %bb.18:
	s_or_b64 exec, exec, s[12:13]
.LBB31_19:
	s_or_b64 exec, exec, s[14:15]
	s_branch .LBB31_26
.LBB31_20:
                                        ; implicit-def: $vgpr1
	s_cbranch_execz .LBB31_26
; %bb.21:
	s_ashr_i32 s14, s7, 3
	v_cmp_gt_i32_e32 vcc, s14, v0
	v_mov_b32_e32 v1, 0
	s_and_saveexec_b64 s[12:13], vcc
	s_cbranch_execz .LBB31_25
; %bb.22:
	s_add_u32 s0, s8, s0
	s_addc_u32 s1, s9, s1
	s_add_u32 s0, s0, s10
	s_addc_u32 s1, s1, s11
	s_add_u32 s0, s2, s0
	v_lshlrev_b32_e32 v1, 5, v0
	s_addc_u32 s1, s3, s1
	s_mov_b32 s8, 0
	v_mov_b32_e32 v3, s1
	v_add_co_u32_e32 v2, vcc, s0, v1
	v_addc_co_u32_e32 v3, vcc, 0, v3, vcc
	s_lshl_b32 s2, s20, 5
	s_mov_b64 s[0:1], 0
	v_mov_b32_e32 v1, 0
	v_mov_b32_e32 v4, s8
	;; [unrolled: 1-line block ×3, first 2 shown]
.LBB31_23:                              ; =>This Inner Loop Header: Depth=1
	global_load_dwordx4 v[6:9], v[2:3], off
	global_load_dwordx4 v[10:13], v[2:3], off offset:16
	v_add_co_u32_e32 v2, vcc, s2, v2
	v_add_u32_e32 v5, s20, v5
	v_addc_co_u32_e32 v3, vcc, v3, v4, vcc
	v_cmp_le_i32_e32 vcc, s14, v5
	s_or_b64 s[0:1], vcc, s[0:1]
	s_waitcnt vmcnt(1)
	v_fmac_f32_e32 v1, v6, v6
	v_fmac_f32_e32 v1, v7, v7
	;; [unrolled: 1-line block ×4, first 2 shown]
	s_waitcnt vmcnt(0)
	v_fmac_f32_e32 v1, v10, v10
	v_fmac_f32_e32 v1, v11, v11
	;; [unrolled: 1-line block ×4, first 2 shown]
	s_andn2_b64 exec, exec, s[0:1]
	s_cbranch_execnz .LBB31_23
; %bb.24:
	s_or_b64 exec, exec, s[0:1]
.LBB31_25:
	s_or_b64 exec, exec, s[12:13]
.LBB31_26:
	v_mbcnt_lo_u32_b32 v2, -1, 0
	v_mbcnt_hi_u32_b32 v2, -1, v2
	v_and_b32_e32 v3, 63, v2
	v_cmp_ne_u32_e32 vcc, 63, v3
	v_addc_co_u32_e32 v4, vcc, 0, v2, vcc
	v_lshlrev_b32_e32 v4, 2, v4
	ds_bpermute_b32 v4, v4, v1
	v_and_b32_e32 v5, 0x3c0, v0
	v_sub_u32_e64 v5, s20, v5 clamp
	v_add_u32_e32 v6, 1, v2
	v_cmp_lt_u32_e32 vcc, v6, v5
	s_waitcnt lgkmcnt(0)
	v_add_f32_e32 v4, v1, v4
	v_cndmask_b32_e32 v1, v1, v4, vcc
	v_cmp_gt_u32_e32 vcc, 62, v3
	v_cndmask_b32_e64 v4, 0, 1, vcc
	v_lshlrev_b32_e32 v4, 1, v4
	v_add_lshl_u32 v4, v4, v2, 2
	ds_bpermute_b32 v4, v4, v1
	v_add_u32_e32 v6, 2, v2
	v_cmp_lt_u32_e32 vcc, v6, v5
	v_add_u32_e32 v6, 4, v2
	s_waitcnt lgkmcnt(0)
	v_add_f32_e32 v4, v1, v4
	v_cndmask_b32_e32 v1, v1, v4, vcc
	v_cmp_gt_u32_e32 vcc, 60, v3
	v_cndmask_b32_e64 v4, 0, 1, vcc
	v_lshlrev_b32_e32 v4, 2, v4
	v_add_lshl_u32 v4, v4, v2, 2
	ds_bpermute_b32 v4, v4, v1
	v_cmp_lt_u32_e32 vcc, v6, v5
	v_add_u32_e32 v6, 8, v2
	s_waitcnt lgkmcnt(0)
	v_add_f32_e32 v4, v1, v4
	v_cndmask_b32_e32 v1, v1, v4, vcc
	v_cmp_gt_u32_e32 vcc, 56, v3
	v_cndmask_b32_e64 v4, 0, 1, vcc
	v_lshlrev_b32_e32 v4, 3, v4
	v_add_lshl_u32 v4, v4, v2, 2
	ds_bpermute_b32 v4, v4, v1
	v_cmp_lt_u32_e32 vcc, v6, v5
	v_add_u32_e32 v6, 16, v2
	s_waitcnt lgkmcnt(0)
	v_add_f32_e32 v4, v1, v4
	v_cndmask_b32_e32 v1, v1, v4, vcc
	v_cmp_gt_u32_e32 vcc, 48, v3
	v_cndmask_b32_e64 v4, 0, 1, vcc
	v_lshlrev_b32_e32 v4, 4, v4
	v_add_lshl_u32 v4, v4, v2, 2
	ds_bpermute_b32 v4, v4, v1
	v_cmp_lt_u32_e32 vcc, v6, v5
	s_waitcnt lgkmcnt(0)
	v_add_f32_e32 v4, v1, v4
	v_cndmask_b32_e32 v1, v1, v4, vcc
	v_cmp_gt_u32_e32 vcc, 32, v3
	v_cndmask_b32_e64 v3, 0, 1, vcc
	v_lshlrev_b32_e32 v3, 5, v3
	v_add_lshl_u32 v3, v3, v2, 2
	ds_bpermute_b32 v3, v3, v1
	v_add_u32_e32 v4, 32, v2
	v_cmp_lt_u32_e32 vcc, v4, v5
	s_waitcnt lgkmcnt(0)
	v_add_f32_e32 v3, v1, v3
	v_cndmask_b32_e32 v1, v1, v3, vcc
	v_cmp_eq_u32_e32 vcc, 0, v2
	s_and_saveexec_b64 s[0:1], vcc
	s_cbranch_execz .LBB31_28
; %bb.27:
	v_lshrrev_b32_e32 v3, 4, v0
	v_and_b32_e32 v3, 60, v3
	ds_write_b32 v3, v1
.LBB31_28:
	s_or_b64 exec, exec, s[0:1]
	v_cmp_gt_u32_e32 vcc, 16, v0
	s_waitcnt lgkmcnt(0)
	s_barrier
	s_and_saveexec_b64 s[2:3], vcc
	s_cbranch_execz .LBB31_30
; %bb.29:
	v_lshlrev_b32_e32 v1, 2, v2
	ds_read_b32 v1, v1
	v_and_b32_e32 v3, 15, v2
	v_cmp_ne_u32_e32 vcc, 15, v3
	v_addc_co_u32_e32 v4, vcc, 0, v2, vcc
	v_lshlrev_b32_e32 v4, 2, v4
	s_waitcnt lgkmcnt(0)
	ds_bpermute_b32 v4, v4, v1
	s_add_i32 s0, s20, 63
	s_lshr_b32 s8, s0, 6
	v_add_u32_e32 v5, 1, v3
	v_cmp_gt_u32_e64 s[0:1], 14, v3
	v_cmp_gt_u32_e32 vcc, s8, v5
	v_cndmask_b32_e64 v5, 0, 1, s[0:1]
	s_waitcnt lgkmcnt(0)
	v_add_f32_e32 v4, v1, v4
	v_lshlrev_b32_e32 v5, 1, v5
	v_cndmask_b32_e32 v4, v1, v4, vcc
	v_add_lshl_u32 v5, v5, v2, 2
	ds_bpermute_b32 v5, v5, v4
	v_add_u32_e32 v6, 2, v3
	v_cmp_gt_u32_e64 s[0:1], s8, v6
	v_add_u32_e32 v6, 4, v3
	s_waitcnt lgkmcnt(0)
	v_add_f32_e32 v5, v4, v5
	v_cndmask_b32_e64 v4, v4, v5, s[0:1]
	v_cmp_gt_u32_e64 s[0:1], 12, v3
	v_cndmask_b32_e64 v5, 0, 1, s[0:1]
	v_lshlrev_b32_e32 v5, 2, v5
	v_add_lshl_u32 v5, v5, v2, 2
	ds_bpermute_b32 v5, v5, v4
	v_cmp_gt_u32_e64 s[0:1], s8, v6
	s_waitcnt lgkmcnt(0)
	v_add_f32_e32 v5, v4, v5
	v_cndmask_b32_e64 v4, v4, v5, s[0:1]
	v_cmp_gt_u32_e64 s[0:1], 8, v3
	v_cndmask_b32_e64 v5, 0, 1, s[0:1]
	v_lshlrev_b32_e32 v5, 3, v5
	v_add_lshl_u32 v2, v5, v2, 2
	ds_bpermute_b32 v2, v2, v4
	v_add_u32_e32 v3, 8, v3
	v_cmp_gt_u32_e64 s[0:1], s8, v3
	s_waitcnt lgkmcnt(0)
	v_add_f32_e32 v2, v4, v2
	v_cndmask_b32_e64 v2, v4, v2, s[0:1]
	v_cndmask_b32_e32 v1, v1, v2, vcc
.LBB31_30:
	s_or_b64 exec, exec, s[2:3]
	v_cmp_eq_u32_e32 vcc, 0, v0
	s_and_saveexec_b64 s[0:1], vcc
	s_cbranch_execz .LBB31_32
; %bb.31:
	v_cvt_f32_i32_e32 v2, s7
	s_load_dword s8, s[4:5], 0x40
	v_div_scale_f32 v3, s[2:3], v2, v2, v1
	v_rcp_f32_e32 v4, v3
	v_div_scale_f32 v5, vcc, v1, v2, v1
	s_mov_b32 s2, 0x800000
	v_fma_f32 v6, -v3, v4, 1.0
	v_fmac_f32_e32 v4, v6, v4
	v_mul_f32_e32 v6, v5, v4
	v_fma_f32 v7, -v3, v6, v5
	v_fmac_f32_e32 v6, v7, v4
	v_fma_f32 v3, -v3, v6, v5
	v_div_fmas_f32 v3, v3, v4, v6
	v_div_fixup_f32 v1, v3, v2, v1
	s_waitcnt lgkmcnt(0)
	v_add_f32_e32 v1, s8, v1
	v_mul_f32_e32 v2, 0x4b800000, v1
	v_cmp_gt_f32_e32 vcc, s2, v1
	v_cndmask_b32_e32 v1, v1, v2, vcc
	v_rsq_f32_e32 v1, v1
	v_mul_f32_e32 v2, 0x45800000, v1
	v_cndmask_b32_e32 v1, v1, v2, vcc
	v_mov_b32_e32 v2, 0
	ds_write_b32 v2, v1 offset:64
.LBB31_32:
	s_or_b64 exec, exec, s[0:1]
	s_ashr_i32 s0, s7, 31
	s_lshr_b32 s0, s0, 29
	s_add_i32 s0, s7, s0
	s_ashr_i32 s10, s0, 3
	v_cmp_gt_i32_e32 vcc, s10, v0
	s_waitcnt lgkmcnt(0)
	s_barrier
	s_and_saveexec_b64 s[0:1], vcc
	s_cbranch_execz .LBB31_44
; %bb.33:
	v_cvt_f32_u32_e32 v1, s20
	s_load_dwordx2 s[0:1], s[4:5], 0x0
	s_load_dwordx2 s[2:3], s[4:5], 0x38
	s_mul_i32 s4, s6, s7
	s_mov_b32 s5, 0
	v_rcp_iflag_f32_e32 v1, v1
	v_mov_b32_e32 v2, 0
	s_lshl_b64 s[4:5], s[4:5], 2
	ds_read_b32 v34, v2 offset:64
	v_mul_f32_e32 v1, 0x4f7ffffe, v1
	v_add_u32_e32 v2, s20, v0
	v_cvt_u32_f32_e32 v1, v1
	s_waitcnt lgkmcnt(0)
	s_add_u32 s11, s0, s4
	v_mov_b32_e32 v4, s20
	v_cmp_gt_i32_e32 vcc, s10, v2
	s_addc_u32 s12, s1, s5
	v_max_i32_e32 v3, s10, v2
	v_addc_co_u32_e64 v2, s[0:1], v0, v4, vcc
	s_sub_i32 s0, 0, s20
	v_sub_u32_e32 v2, v3, v2
	v_mul_lo_u32 v3, s0, v1
	v_mul_hi_u32 v3, v1, v3
	v_add_u32_e32 v1, v1, v3
	v_mul_hi_u32 v1, v2, v1
	v_mul_lo_u32 v3, v1, s20
	v_sub_u32_e32 v2, v2, v3
	v_add_u32_e32 v3, 1, v1
	v_cmp_le_u32_e64 s[0:1], s20, v2
	v_cndmask_b32_e64 v1, v1, v3, s[0:1]
	v_subrev_u32_e32 v3, s20, v2
	v_cndmask_b32_e64 v2, v2, v3, s[0:1]
	v_add_u32_e32 v3, 1, v1
	v_cmp_le_u32_e64 s[0:1], s20, v2
	v_cndmask_b32_e64 v1, v1, v3, s[0:1]
	v_addc_co_u32_e32 v44, vcc, 1, v1, vcc
	s_cmp_lg_u32 s20, 1
	v_cmp_gt_u32_e32 vcc, 2, v44
	s_cselect_b64 s[0:1], -1, 0
	s_or_b64 s[0:1], vcc, s[0:1]
	s_mov_b64 s[4:5], 0
	s_and_saveexec_b64 s[6:7], s[0:1]
	s_xor_b64 s[0:1], exec, s[6:7]
	s_cbranch_execnz .LBB31_38
; %bb.34:
	s_andn2_saveexec_b64 s[6:7], s[0:1]
	s_cbranch_execnz .LBB31_39
.LBB31_35:
	s_or_b64 exec, exec, s[6:7]
	s_and_b64 exec, exec, s[4:5]
	s_cbranch_execnz .LBB31_42
	s_branch .LBB31_44
.LBB31_36:
                                        ; implicit-def: $sgpr16_sgpr17
	s_branch .LBB31_2
.LBB31_37:
                                        ; implicit-def: $sgpr20_sgpr21
	s_branch .LBB31_5
.LBB31_38:
	s_mov_b64 s[4:5], exec
                                        ; implicit-def: $vgpr44
	s_andn2_saveexec_b64 s[6:7], s[0:1]
	s_cbranch_execz .LBB31_35
.LBB31_39:
	v_and_b32_e32 v45, -2, v44
	v_add_u32_e32 v1, 1, v0
	v_mov_b32_e32 v35, v34
	s_mov_b64 s[8:9], 0
	v_mov_b32_e32 v46, s19
	v_mov_b32_e32 v47, s3
	v_mov_b32_e32 v48, s12
	v_mov_b32_e32 v37, 0
	v_mov_b32_e32 v49, v45
	v_pk_mov_b32 v[38:39], v[0:1], v[0:1] op_sel:[0,1]
.LBB31_40:                              ; =>This Inner Loop Header: Depth=1
	v_mov_b32_e32 v36, v38
	v_lshlrev_b64 v[40:41], 5, v[36:37]
	v_add_co_u32_e32 v10, vcc, s18, v40
	v_addc_co_u32_e32 v11, vcc, v46, v41, vcc
	v_mov_b32_e32 v36, v39
	v_add_co_u32_e32 v12, vcc, s2, v40
	v_lshlrev_b64 v[42:43], 5, v[36:37]
	v_addc_co_u32_e32 v13, vcc, v47, v41, vcc
	v_add_co_u32_e32 v50, vcc, s18, v42
	v_addc_co_u32_e32 v51, vcc, v46, v43, vcc
	v_add_co_u32_e32 v52, vcc, s2, v42
	global_load_dwordx4 v[2:5], v[10:11], off offset:16
	global_load_dwordx4 v[14:17], v[10:11], off
	global_load_dwordx4 v[6:9], v[12:13], off offset:16
	global_load_dwordx4 v[26:29], v[12:13], off
	v_addc_co_u32_e32 v53, vcc, v47, v43, vcc
	global_load_dwordx4 v[18:21], v[50:51], off
	global_load_dwordx4 v[10:13], v[50:51], off offset:16
	global_load_dwordx4 v[30:33], v[52:53], off
	global_load_dwordx4 v[22:25], v[52:53], off offset:16
	v_add_u32_e32 v49, -2, v49
	v_cmp_eq_u32_e32 vcc, 0, v49
	v_add_co_u32_e64 v40, s[0:1], s11, v40
	v_add_u32_e32 v38, 2, v38
	v_add_u32_e32 v39, 2, v39
	v_addc_co_u32_e64 v41, s[0:1], v48, v41, s[0:1]
	s_or_b64 s[8:9], vcc, s[8:9]
	v_add_co_u32_e32 v42, vcc, s11, v42
	v_addc_co_u32_e32 v43, vcc, v48, v43, vcc
	s_waitcnt vmcnt(6)
	v_mov_b32_e32 v50, v14
	v_mov_b32_e32 v14, v16
	s_waitcnt vmcnt(3)
	v_mov_b32_e32 v51, v18
	v_mov_b32_e32 v18, v15
	;; [unrolled: 1-line block ×10, first 2 shown]
	s_waitcnt vmcnt(2)
	v_mov_b32_e32 v17, v10
	v_mov_b32_e32 v10, v3
	v_mov_b32_e32 v3, v12
	v_mov_b32_e32 v12, v5
	s_waitcnt vmcnt(1)
	v_mov_b32_e32 v5, v30
	v_mov_b32_e32 v30, v27
	v_mov_b32_e32 v27, v32
	v_mov_b32_e32 v32, v29
	;; [unrolled: 5-line block ×3, first 2 shown]
	v_pk_mul_f32 v[6:7], v[50:51], v[34:35]
	v_pk_mul_f32 v[8:9], v[18:19], v[34:35]
	;; [unrolled: 1-line block ×16, first 2 shown]
	v_mov_b32_e32 v10, v50
	v_mov_b32_e32 v11, v2
	;; [unrolled: 1-line block ×12, first 2 shown]
	global_store_dwordx4 v[40:41], v[10:13], off
	global_store_dwordx4 v[42:43], v[2:5], off
	global_store_dwordx4 v[40:41], v[14:17], off offset:16
	global_store_dwordx4 v[42:43], v[6:9], off offset:16
	s_andn2_b64 exec, exec, s[8:9]
	s_cbranch_execnz .LBB31_40
; %bb.41:
	s_or_b64 exec, exec, s[8:9]
	v_cmp_ne_u32_e32 vcc, v44, v45
	s_andn2_b64 s[0:1], s[4:5], exec
	s_and_b64 s[4:5], vcc, exec
	v_add_u32_e32 v0, v0, v45
	s_or_b64 s[4:5], s[0:1], s[4:5]
	s_or_b64 exec, exec, s[6:7]
	s_and_b64 exec, exec, s[4:5]
	s_cbranch_execz .LBB31_44
.LBB31_42:
	v_mov_b32_e32 v1, 0
	v_mov_b32_e32 v35, v34
	v_lshlrev_b64 v[2:3], 5, v[0:1]
	s_lshl_b32 s6, s20, 5
	s_mov_b64 s[4:5], 0
.LBB31_43:                              ; =>This Inner Loop Header: Depth=1
	v_mov_b32_e32 v1, s19
	v_add_co_u32_e64 v22, s[0:1], s18, v2
	v_mov_b32_e32 v4, s3
	v_add_co_u32_e32 v20, vcc, s2, v2
	v_addc_co_u32_e64 v23, s[0:1], v1, v3, s[0:1]
	v_addc_co_u32_e32 v21, vcc, v4, v3, vcc
	global_load_dwordx4 v[4:7], v[22:23], off
	global_load_dwordx4 v[8:11], v[22:23], off offset:16
	global_load_dwordx4 v[12:15], v[20:21], off
	global_load_dwordx4 v[16:19], v[20:21], off offset:16
	v_add_co_u32_e32 v20, vcc, s11, v2
	s_add_u32 s11, s11, s6
	v_mov_b32_e32 v1, s12
	s_addc_u32 s12, s12, 0
	s_add_u32 s18, s18, s6
	s_addc_u32 s19, s19, 0
	v_add_u32_e32 v0, s20, v0
	v_addc_co_u32_e32 v21, vcc, v1, v3, vcc
	s_add_u32 s2, s2, s6
	v_cmp_le_i32_e32 vcc, s10, v0
	s_addc_u32 s3, s3, 0
	s_or_b64 s[4:5], vcc, s[4:5]
	s_waitcnt vmcnt(3)
	v_pk_mul_f32 v[4:5], v[4:5], v[34:35]
	v_pk_mul_f32 v[6:7], v[6:7], v[34:35]
	s_waitcnt vmcnt(2)
	v_pk_mul_f32 v[8:9], v[8:9], v[34:35]
	v_pk_mul_f32 v[10:11], v[10:11], v[34:35]
	;; [unrolled: 3-line block ×4, first 2 shown]
	global_store_dwordx4 v[20:21], v[4:7], off
	global_store_dwordx4 v[20:21], v[8:11], off offset:16
	s_andn2_b64 exec, exec, s[4:5]
	s_cbranch_execnz .LBB31_43
.LBB31_44:
	s_endpgm
	.section	.rodata,"a",@progbits
	.p2align	6, 0x0
	.amdhsa_kernel _ZN4vllm15rms_norm_kernelIfLi8ELi4EEEvPT_PKS1_lllllS4_fii
		.amdhsa_group_segment_fixed_size 68
		.amdhsa_private_segment_fixed_size 0
		.amdhsa_kernarg_size 336
		.amdhsa_user_sgpr_count 6
		.amdhsa_user_sgpr_private_segment_buffer 1
		.amdhsa_user_sgpr_dispatch_ptr 0
		.amdhsa_user_sgpr_queue_ptr 0
		.amdhsa_user_sgpr_kernarg_segment_ptr 1
		.amdhsa_user_sgpr_dispatch_id 0
		.amdhsa_user_sgpr_flat_scratch_init 0
		.amdhsa_user_sgpr_kernarg_preload_length 0
		.amdhsa_user_sgpr_kernarg_preload_offset 0
		.amdhsa_user_sgpr_private_segment_size 0
		.amdhsa_uses_dynamic_stack 0
		.amdhsa_system_sgpr_private_segment_wavefront_offset 0
		.amdhsa_system_sgpr_workgroup_id_x 1
		.amdhsa_system_sgpr_workgroup_id_y 0
		.amdhsa_system_sgpr_workgroup_id_z 0
		.amdhsa_system_sgpr_workgroup_info 0
		.amdhsa_system_vgpr_workitem_id 0
		.amdhsa_next_free_vgpr 54
		.amdhsa_next_free_sgpr 35
		.amdhsa_accum_offset 56
		.amdhsa_reserve_vcc 1
		.amdhsa_reserve_flat_scratch 0
		.amdhsa_float_round_mode_32 0
		.amdhsa_float_round_mode_16_64 0
		.amdhsa_float_denorm_mode_32 3
		.amdhsa_float_denorm_mode_16_64 3
		.amdhsa_dx10_clamp 1
		.amdhsa_ieee_mode 1
		.amdhsa_fp16_overflow 0
		.amdhsa_tg_split 0
		.amdhsa_exception_fp_ieee_invalid_op 0
		.amdhsa_exception_fp_denorm_src 0
		.amdhsa_exception_fp_ieee_div_zero 0
		.amdhsa_exception_fp_ieee_overflow 0
		.amdhsa_exception_fp_ieee_underflow 0
		.amdhsa_exception_fp_ieee_inexact 0
		.amdhsa_exception_int_div_zero 0
	.end_amdhsa_kernel
	.section	.text._ZN4vllm15rms_norm_kernelIfLi8ELi4EEEvPT_PKS1_lllllS4_fii,"axG",@progbits,_ZN4vllm15rms_norm_kernelIfLi8ELi4EEEvPT_PKS1_lllllS4_fii,comdat
.Lfunc_end31:
	.size	_ZN4vllm15rms_norm_kernelIfLi8ELi4EEEvPT_PKS1_lllllS4_fii, .Lfunc_end31-_ZN4vllm15rms_norm_kernelIfLi8ELi4EEEvPT_PKS1_lllllS4_fii
                                        ; -- End function
	.section	.AMDGPU.csdata,"",@progbits
; Kernel info:
; codeLenInByte = 4188
; NumSgprs: 39
; NumVgprs: 54
; NumAgprs: 0
; TotalNumVgprs: 54
; ScratchSize: 0
; MemoryBound: 0
; FloatMode: 240
; IeeeMode: 1
; LDSByteSize: 68 bytes/workgroup (compile time only)
; SGPRBlocks: 4
; VGPRBlocks: 6
; NumSGPRsForWavesPerEU: 39
; NumVGPRsForWavesPerEU: 54
; AccumOffset: 56
; Occupancy: 8
; WaveLimiterHint : 0
; COMPUTE_PGM_RSRC2:SCRATCH_EN: 0
; COMPUTE_PGM_RSRC2:USER_SGPR: 6
; COMPUTE_PGM_RSRC2:TRAP_HANDLER: 0
; COMPUTE_PGM_RSRC2:TGID_X_EN: 1
; COMPUTE_PGM_RSRC2:TGID_Y_EN: 0
; COMPUTE_PGM_RSRC2:TGID_Z_EN: 0
; COMPUTE_PGM_RSRC2:TIDIG_COMP_CNT: 0
; COMPUTE_PGM_RSRC3_GFX90A:ACCUM_OFFSET: 13
; COMPUTE_PGM_RSRC3_GFX90A:TG_SPLIT: 0
	.section	.text._ZN4vllm15rms_norm_kernelIfLi4ELi4EEEvPT_PKS1_lllllS4_fii,"axG",@progbits,_ZN4vllm15rms_norm_kernelIfLi4ELi4EEEvPT_PKS1_lllllS4_fii,comdat
	.protected	_ZN4vllm15rms_norm_kernelIfLi4ELi4EEEvPT_PKS1_lllllS4_fii ; -- Begin function _ZN4vllm15rms_norm_kernelIfLi4ELi4EEEvPT_PKS1_lllllS4_fii
	.globl	_ZN4vllm15rms_norm_kernelIfLi4ELi4EEEvPT_PKS1_lllllS4_fii
	.p2align	8
	.type	_ZN4vllm15rms_norm_kernelIfLi4ELi4EEEvPT_PKS1_lllllS4_fii,@function
_ZN4vllm15rms_norm_kernelIfLi4ELi4EEEvPT_PKS1_lllllS4_fii: ; @_ZN4vllm15rms_norm_kernelIfLi4ELi4EEEvPT_PKS1_lllllS4_fii
; %bb.0:
	s_load_dwordx8 s[8:15], s[4:5], 0x10
	s_load_dwordx2 s[2:3], s[4:5], 0x30
	s_mov_b32 s0, 0
	s_waitcnt lgkmcnt(0)
	s_mul_i32 s1, s2, s15
	s_mul_hi_u32 s7, s2, s14
	s_add_i32 s1, s7, s1
	s_mul_i32 s3, s3, s14
	s_add_i32 s1, s1, s3
	s_cmp_lg_u64 s[0:1], 0
	s_mul_i32 s7, s2, s14
	s_cbranch_scc0 .LBB32_36
; %bb.1:
	s_ashr_i32 s2, s1, 31
	s_add_u32 s0, s7, s2
	s_mov_b32 s3, s2
	s_addc_u32 s1, s1, s2
	s_xor_b64 s[16:17], s[0:1], s[2:3]
	v_cvt_f32_u32_e32 v1, s16
	v_cvt_f32_u32_e32 v2, s17
	s_sub_u32 s0, 0, s16
	s_subb_u32 s1, 0, s17
	v_madmk_f32 v1, v2, 0x4f800000, v1
	v_rcp_f32_e32 v1, v1
	v_mul_f32_e32 v1, 0x5f7ffffc, v1
	v_mul_f32_e32 v2, 0x2f800000, v1
	v_trunc_f32_e32 v2, v2
	v_madmk_f32 v1, v2, 0xcf800000, v1
	v_cvt_u32_f32_e32 v2, v2
	v_cvt_u32_f32_e32 v1, v1
	v_readfirstlane_b32 s20, v2
	v_readfirstlane_b32 s21, v1
	s_mul_i32 s22, s0, s20
	s_mul_hi_u32 s24, s0, s21
	s_mul_i32 s23, s1, s21
	s_add_i32 s22, s24, s22
	s_add_i32 s22, s22, s23
	s_mul_i32 s25, s0, s21
	s_mul_hi_u32 s23, s21, s22
	s_mul_i32 s24, s21, s22
	s_mul_hi_u32 s21, s21, s25
	s_add_u32 s21, s21, s24
	s_addc_u32 s23, 0, s23
	s_mul_hi_u32 s26, s20, s25
	s_mul_i32 s25, s20, s25
	s_add_u32 s21, s21, s25
	s_mul_hi_u32 s24, s20, s22
	s_addc_u32 s21, s23, s26
	s_addc_u32 s23, s24, 0
	s_mul_i32 s22, s20, s22
	s_add_u32 s21, s21, s22
	s_addc_u32 s22, 0, s23
	v_add_co_u32_e32 v1, vcc, s21, v1
	s_cmp_lg_u64 vcc, 0
	s_addc_u32 s20, s20, s22
	v_readfirstlane_b32 s22, v1
	s_mul_i32 s21, s0, s20
	s_mul_hi_u32 s23, s0, s22
	s_add_i32 s21, s23, s21
	s_mul_i32 s1, s1, s22
	s_add_i32 s21, s21, s1
	s_mul_i32 s0, s0, s22
	s_mul_hi_u32 s23, s20, s0
	s_mul_i32 s24, s20, s0
	s_mul_i32 s26, s22, s21
	s_mul_hi_u32 s0, s22, s0
	s_mul_hi_u32 s25, s22, s21
	s_add_u32 s0, s0, s26
	s_addc_u32 s22, 0, s25
	s_add_u32 s0, s0, s24
	s_mul_hi_u32 s1, s20, s21
	s_addc_u32 s0, s22, s23
	s_addc_u32 s1, s1, 0
	s_mul_i32 s21, s20, s21
	s_add_u32 s0, s0, s21
	s_addc_u32 s1, 0, s1
	v_add_co_u32_e32 v1, vcc, s0, v1
	s_cmp_lg_u64 vcc, 0
	s_addc_u32 s0, s20, s1
	v_readfirstlane_b32 s20, v1
	s_mul_hi_u32 s1, s6, s0
	s_mul_i32 s0, s6, s0
	s_mul_hi_u32 s20, s6, s20
	s_add_u32 s0, s20, s0
	s_addc_u32 s1, 0, s1
	s_add_u32 s0, s0, 0
	s_addc_u32 s0, s1, 0
	s_addc_u32 s1, 0, 0
	s_add_u32 s20, s0, 0
	s_addc_u32 s21, 0, s1
	s_mul_i32 s0, s16, s21
	s_mul_hi_u32 s1, s16, s20
	s_add_i32 s0, s1, s0
	s_mul_i32 s1, s17, s20
	s_add_i32 s22, s0, s1
	s_mul_i32 s1, s16, s20
	v_mov_b32_e32 v1, s1
	s_sub_i32 s0, 0, s22
	v_sub_co_u32_e32 v1, vcc, s6, v1
	s_cmp_lg_u64 vcc, 0
	s_subb_u32 s23, s0, s17
	v_subrev_co_u32_e64 v2, s[0:1], s16, v1
	s_cmp_lg_u64 s[0:1], 0
	s_subb_u32 s0, s23, 0
	s_cmp_ge_u32 s0, s17
	v_readfirstlane_b32 s23, v2
	s_cselect_b32 s1, -1, 0
	s_cmp_ge_u32 s23, s16
	s_cselect_b32 s23, -1, 0
	s_cmp_eq_u32 s0, s17
	s_cselect_b32 s0, s23, s1
	s_add_u32 s1, s20, 1
	s_addc_u32 s23, s21, 0
	s_add_u32 s24, s20, 2
	s_addc_u32 s25, s21, 0
	s_cmp_lg_u32 s0, 0
	s_cselect_b32 s0, s24, s1
	s_cselect_b32 s1, s25, s23
	s_cmp_lg_u64 vcc, 0
	s_subb_u32 s22, 0, s22
	s_cmp_ge_u32 s22, s17
	v_readfirstlane_b32 s24, v1
	s_cselect_b32 s23, -1, 0
	s_cmp_ge_u32 s24, s16
	s_cselect_b32 s16, -1, 0
	s_cmp_eq_u32 s22, s17
	s_cselect_b32 s16, s16, s23
	s_cmp_lg_u32 s16, 0
	s_cselect_b32 s1, s1, s21
	s_cselect_b32 s0, s0, s20
	s_xor_b64 s[0:1], s[0:1], s[2:3]
	s_sub_u32 s16, s0, s2
	s_subb_u32 s17, s1, s2
	s_cbranch_execnz .LBB32_3
.LBB32_2:
	v_cvt_f32_u32_e32 v1, s7
	s_sub_i32 s0, 0, s7
	s_mov_b32 s17, 0
	v_rcp_iflag_f32_e32 v1, v1
	v_mul_f32_e32 v1, 0x4f7ffffe, v1
	v_cvt_u32_f32_e32 v1, v1
	v_readfirstlane_b32 s1, v1
	s_mul_i32 s0, s0, s1
	s_mul_hi_u32 s0, s1, s0
	s_add_i32 s1, s1, s0
	s_mul_hi_u32 s0, s6, s1
	s_mul_i32 s2, s0, s7
	s_sub_i32 s2, s6, s2
	s_add_i32 s1, s0, 1
	s_sub_i32 s3, s2, s7
	s_cmp_ge_u32 s2, s7
	s_cselect_b32 s0, s1, s0
	s_cselect_b32 s2, s3, s2
	s_add_i32 s1, s0, 1
	s_cmp_ge_u32 s2, s7
	s_cselect_b32 s16, s1, s0
.LBB32_3:
	s_mul_i32 s0, s16, s7
	s_load_dwordx2 s[2:3], s[4:5], 0x8
	s_sub_i32 s18, s6, s0
	s_ashr_i32 s19, s18, 31
	s_or_b64 s[0:1], s[18:19], s[14:15]
	s_mov_b32 s0, 0
	s_cmp_lg_u64 s[0:1], 0
	s_cbranch_scc0 .LBB32_37
; %bb.4:
	s_ashr_i32 s20, s15, 31
	s_add_u32 s0, s14, s20
	s_mov_b32 s21, s20
	s_addc_u32 s1, s15, s20
	s_xor_b64 s[24:25], s[0:1], s[20:21]
	v_cvt_f32_u32_e32 v1, s24
	v_cvt_f32_u32_e32 v2, s25
	s_sub_u32 s0, 0, s24
	s_subb_u32 s1, 0, s25
	v_madmk_f32 v1, v2, 0x4f800000, v1
	v_rcp_f32_e32 v1, v1
	v_mul_f32_e32 v1, 0x5f7ffffc, v1
	v_mul_f32_e32 v2, 0x2f800000, v1
	v_trunc_f32_e32 v2, v2
	v_madmk_f32 v1, v2, 0xcf800000, v1
	v_cvt_u32_f32_e32 v2, v2
	v_cvt_u32_f32_e32 v1, v1
	v_readfirstlane_b32 s7, v2
	v_readfirstlane_b32 s26, v1
	s_mul_i32 s27, s0, s7
	s_mul_hi_u32 s29, s0, s26
	s_mul_i32 s28, s1, s26
	s_add_i32 s27, s29, s27
	s_add_i32 s27, s27, s28
	s_mul_i32 s30, s0, s26
	s_mul_hi_u32 s28, s26, s27
	s_mul_i32 s29, s26, s27
	s_mul_hi_u32 s26, s26, s30
	s_add_u32 s26, s26, s29
	s_addc_u32 s28, 0, s28
	s_mul_hi_u32 s31, s7, s30
	s_mul_i32 s30, s7, s30
	s_add_u32 s26, s26, s30
	s_mul_hi_u32 s29, s7, s27
	s_addc_u32 s26, s28, s31
	s_addc_u32 s28, s29, 0
	s_mul_i32 s27, s7, s27
	s_add_u32 s26, s26, s27
	s_addc_u32 s27, 0, s28
	v_add_co_u32_e32 v1, vcc, s26, v1
	s_cmp_lg_u64 vcc, 0
	s_addc_u32 s7, s7, s27
	v_readfirstlane_b32 s27, v1
	s_mul_i32 s26, s0, s7
	s_mul_hi_u32 s28, s0, s27
	s_add_i32 s26, s28, s26
	s_mul_i32 s1, s1, s27
	s_add_i32 s26, s26, s1
	s_mul_i32 s0, s0, s27
	s_mul_hi_u32 s28, s7, s0
	s_mul_i32 s29, s7, s0
	s_mul_i32 s31, s27, s26
	s_mul_hi_u32 s0, s27, s0
	s_mul_hi_u32 s30, s27, s26
	s_add_u32 s0, s0, s31
	s_addc_u32 s27, 0, s30
	s_add_u32 s0, s0, s29
	s_mul_hi_u32 s1, s7, s26
	s_addc_u32 s0, s27, s28
	s_addc_u32 s1, s1, 0
	s_mul_i32 s26, s7, s26
	s_add_u32 s0, s0, s26
	s_addc_u32 s1, 0, s1
	v_add_co_u32_e32 v1, vcc, s0, v1
	s_cmp_lg_u64 vcc, 0
	s_addc_u32 s7, s7, s1
	s_add_u32 s0, s18, s19
	s_mov_b32 s26, s19
	s_mov_b32 s27, s19
	s_addc_u32 s1, s19, s19
	s_xor_b64 s[28:29], s[0:1], s[26:27]
	v_readfirstlane_b32 s30, v1
	s_mul_i32 s1, s28, s7
	s_mul_hi_u32 s31, s28, s30
	s_mul_hi_u32 s0, s28, s7
	s_add_u32 s1, s31, s1
	s_addc_u32 s0, 0, s0
	s_mul_hi_u32 s33, s29, s30
	s_mul_i32 s30, s29, s30
	s_add_u32 s1, s1, s30
	s_mul_hi_u32 s31, s29, s7
	s_addc_u32 s0, s0, s33
	s_addc_u32 s1, s31, 0
	s_mul_i32 s7, s29, s7
	s_add_u32 s7, s0, s7
	s_addc_u32 s30, 0, s1
	s_mul_i32 s0, s24, s30
	s_mul_hi_u32 s1, s24, s7
	s_add_i32 s0, s1, s0
	s_mul_i32 s1, s25, s7
	s_add_i32 s31, s0, s1
	s_mul_i32 s1, s24, s7
	v_mov_b32_e32 v1, s1
	s_sub_i32 s0, s29, s31
	v_sub_co_u32_e32 v1, vcc, s28, v1
	s_cmp_lg_u64 vcc, 0
	s_subb_u32 s28, s0, s25
	v_subrev_co_u32_e64 v2, s[0:1], s24, v1
	s_cmp_lg_u64 s[0:1], 0
	s_subb_u32 s0, s28, 0
	s_cmp_ge_u32 s0, s25
	v_readfirstlane_b32 s28, v2
	s_cselect_b32 s1, -1, 0
	s_cmp_ge_u32 s28, s24
	s_cselect_b32 s28, -1, 0
	s_cmp_eq_u32 s0, s25
	s_cselect_b32 s0, s28, s1
	s_add_u32 s1, s7, 1
	s_addc_u32 s28, s30, 0
	s_add_u32 s33, s7, 2
	s_addc_u32 s34, s30, 0
	s_cmp_lg_u32 s0, 0
	s_cselect_b32 s0, s33, s1
	s_cselect_b32 s1, s34, s28
	s_cmp_lg_u64 vcc, 0
	s_subb_u32 s28, s29, s31
	s_cmp_ge_u32 s28, s25
	v_readfirstlane_b32 s31, v1
	s_cselect_b32 s29, -1, 0
	s_cmp_ge_u32 s31, s24
	s_cselect_b32 s24, -1, 0
	s_cmp_eq_u32 s28, s25
	s_cselect_b32 s24, s24, s29
	s_cmp_lg_u32 s24, 0
	s_cselect_b32 s1, s1, s30
	s_cselect_b32 s0, s0, s7
	s_xor_b64 s[20:21], s[26:27], s[20:21]
	s_xor_b64 s[0:1], s[0:1], s[20:21]
	s_sub_u32 s0, s0, s20
	s_subb_u32 s1, s1, s21
	s_cbranch_execnz .LBB32_6
.LBB32_5:
	v_cvt_f32_u32_e32 v1, s14
	s_sub_i32 s0, 0, s14
	s_mov_b32 s1, 0
	v_rcp_iflag_f32_e32 v1, v1
	v_mul_f32_e32 v1, 0x4f7ffffe, v1
	v_cvt_u32_f32_e32 v1, v1
	v_readfirstlane_b32 s7, v1
	s_mul_i32 s0, s0, s7
	s_mul_hi_u32 s0, s7, s0
	s_add_i32 s7, s7, s0
	s_mul_hi_u32 s0, s18, s7
	s_mul_i32 s20, s0, s14
	s_sub_i32 s20, s18, s20
	s_add_i32 s7, s0, 1
	s_sub_i32 s21, s20, s14
	s_cmp_ge_u32 s20, s14
	s_cselect_b32 s0, s7, s0
	s_cselect_b32 s20, s21, s20
	s_add_i32 s7, s0, 1
	s_cmp_ge_u32 s20, s14
	s_cselect_b32 s0, s7, s0
.LBB32_6:
	s_mul_i32 s7, s0, s15
	s_mul_hi_u32 s15, s0, s14
	s_add_i32 s7, s15, s7
	s_mul_i32 s15, s1, s14
	s_add_i32 s7, s7, s15
	s_mul_i32 s14, s0, s14
	s_sub_u32 s18, s18, s14
	s_subb_u32 s7, s19, s7
	s_bfe_i64 s[14:15], s[16:17], 0x200000
	s_mul_i32 s13, s16, s13
	s_mul_hi_u32 s14, s16, s12
	s_add_i32 s13, s14, s13
	s_mul_i32 s14, s15, s12
	s_add_i32 s13, s13, s14
	s_mul_i32 s12, s16, s12
	s_lshl_b64 s[12:13], s[12:13], 2
	s_waitcnt lgkmcnt(0)
	s_add_u32 s16, s2, s12
	s_addc_u32 s17, s3, s13
	s_bfe_i64 s[14:15], s[0:1], 0x200000
	s_mul_i32 s1, s0, s11
	s_mul_hi_u32 s11, s0, s10
	s_add_i32 s1, s11, s1
	s_mul_i32 s11, s15, s10
	s_add_i32 s1, s1, s11
	s_mul_i32 s0, s0, s10
	s_lshl_b64 s[10:11], s[0:1], 2
	s_add_u32 s14, s16, s10
	s_mul_i32 s0, s18, s9
	s_mul_hi_u32 s1, s18, s8
	s_addc_u32 s15, s17, s11
	s_add_i32 s0, s1, s0
	s_mul_i32 s7, s7, s8
	s_add_i32 s1, s0, s7
	s_load_dword s7, s[4:5], 0x48
	s_load_dword s16, s[4:5], 0x5c
	s_mul_i32 s0, s18, s8
	s_lshl_b64 s[8:9], s[0:1], 2
	s_add_u32 s23, s14, s8
	s_addc_u32 s24, s15, s9
	s_waitcnt lgkmcnt(0)
	s_and_b32 s22, s16, 0xffff
	s_and_b32 s0, s23, 15
	s_mov_b32 s1, 0
	s_cmp_lg_u64 s[0:1], 0
	s_cselect_b64 s[0:1], -1, 0
	s_and_b32 s14, s7, 3
	s_cmp_lg_u32 s14, 0
	s_cselect_b64 s[14:15], -1, 0
	s_or_b64 s[0:1], s[14:15], s[0:1]
	s_and_b64 vcc, exec, s[0:1]
	s_cbranch_vccz .LBB32_20
; %bb.7:
	s_sub_i32 s0, 0, s23
	s_bfe_u32 s0, s0, 0x20002
	s_min_i32 s0, s0, s7
	v_cmp_gt_i32_e32 vcc, s0, v0
	v_mov_b32_e32 v1, 0
	s_and_saveexec_b64 s[14:15], vcc
	s_cbranch_execz .LBB32_11
; %bb.8:
	s_add_u32 s1, s8, s12
	s_addc_u32 s16, s9, s13
	s_add_u32 s1, s1, s10
	s_addc_u32 s16, s16, s11
	s_add_u32 s1, s2, s1
	v_lshlrev_b32_e32 v1, 2, v0
	s_addc_u32 s16, s3, s16
	s_mov_b32 s18, 0
	v_mov_b32_e32 v3, s16
	v_add_co_u32_e32 v2, vcc, s1, v1
	v_addc_co_u32_e32 v3, vcc, 0, v3, vcc
	s_lshl_b32 s1, s22, 2
	s_mov_b64 s[16:17], 0
	v_mov_b32_e32 v1, 0
	v_mov_b32_e32 v4, s18
	;; [unrolled: 1-line block ×3, first 2 shown]
.LBB32_9:                               ; =>This Inner Loop Header: Depth=1
	global_load_dword v6, v[2:3], off
	v_add_co_u32_e32 v2, vcc, s1, v2
	v_add_u32_e32 v5, s22, v5
	v_addc_co_u32_e32 v3, vcc, v3, v4, vcc
	v_cmp_le_i32_e32 vcc, s0, v5
	s_or_b64 s[16:17], vcc, s[16:17]
	s_waitcnt vmcnt(0)
	v_fmac_f32_e32 v1, v6, v6
	s_andn2_b64 exec, exec, s[16:17]
	s_cbranch_execnz .LBB32_9
; %bb.10:
	s_or_b64 exec, exec, s[16:17]
.LBB32_11:
	s_or_b64 exec, exec, s[14:15]
	s_sub_i32 s18, s7, s0
	s_ashr_i32 s14, s18, 31
	s_lshr_b32 s14, s14, 30
	s_add_i32 s14, s18, s14
	s_ashr_i32 s19, s14, 2
	s_ashr_i32 s1, s0, 31
	v_cmp_gt_i32_e32 vcc, s19, v0
	s_and_saveexec_b64 s[14:15], vcc
	s_cbranch_execz .LBB32_15
; %bb.12:
	s_add_u32 s16, s8, s12
	s_addc_u32 s17, s9, s13
	s_add_u32 s20, s16, s10
	s_addc_u32 s21, s17, s11
	s_lshl_b64 s[16:17], s[0:1], 2
	s_add_u32 s16, s2, s16
	s_addc_u32 s17, s3, s17
	s_add_u32 s16, s16, s20
	v_lshlrev_b32_e32 v2, 4, v0
	s_addc_u32 s17, s17, s21
	s_mov_b32 s25, 0
	v_mov_b32_e32 v3, s17
	v_add_co_u32_e32 v2, vcc, s16, v2
	v_addc_co_u32_e32 v3, vcc, 0, v3, vcc
	s_lshl_b32 s20, s22, 4
	s_mov_b64 s[16:17], 0
	v_mov_b32_e32 v4, s25
	v_mov_b32_e32 v5, v0
.LBB32_13:                              ; =>This Inner Loop Header: Depth=1
	global_load_dwordx4 v[6:9], v[2:3], off
	v_add_co_u32_e32 v2, vcc, s20, v2
	v_add_u32_e32 v5, s22, v5
	v_addc_co_u32_e32 v3, vcc, v3, v4, vcc
	v_cmp_le_i32_e32 vcc, s19, v5
	s_or_b64 s[16:17], vcc, s[16:17]
	s_waitcnt vmcnt(0)
	v_fmac_f32_e32 v1, v6, v6
	v_fmac_f32_e32 v1, v7, v7
	;; [unrolled: 1-line block ×4, first 2 shown]
	s_andn2_b64 exec, exec, s[16:17]
	s_cbranch_execnz .LBB32_13
; %bb.14:
	s_or_b64 exec, exec, s[16:17]
.LBB32_15:
	s_or_b64 exec, exec, s[14:15]
	v_lshl_add_u32 v2, s19, 2, v0
	v_cmp_gt_i32_e32 vcc, s18, v2
	s_and_saveexec_b64 s[14:15], vcc
	s_cbranch_execz .LBB32_19
; %bb.16:
	s_add_u32 s16, s8, s12
	s_addc_u32 s17, s9, s13
	s_add_u32 s16, s16, s10
	s_addc_u32 s17, s17, s11
	s_lshl_b64 s[0:1], s[0:1], 2
	s_add_u32 s0, s16, s0
	s_addc_u32 s1, s17, s1
	v_ashrrev_i32_e32 v3, 31, v2
	s_add_u32 s0, s2, s0
	v_lshlrev_b64 v[4:5], 2, v[2:3]
	s_addc_u32 s1, s3, s1
	v_mov_b32_e32 v3, s1
	v_add_co_u32_e32 v4, vcc, s0, v4
	s_mov_b32 s17, 0
	v_addc_co_u32_e32 v5, vcc, v3, v5, vcc
	s_lshl_b32 s16, s22, 2
	s_mov_b64 s[0:1], 0
	v_mov_b32_e32 v3, s17
.LBB32_17:                              ; =>This Inner Loop Header: Depth=1
	global_load_dword v6, v[4:5], off
	v_add_co_u32_e32 v4, vcc, s16, v4
	v_add_u32_e32 v2, s22, v2
	v_addc_co_u32_e32 v5, vcc, v5, v3, vcc
	v_cmp_le_i32_e32 vcc, s18, v2
	s_or_b64 s[0:1], vcc, s[0:1]
	s_waitcnt vmcnt(0)
	v_fmac_f32_e32 v1, v6, v6
	s_andn2_b64 exec, exec, s[0:1]
	s_cbranch_execnz .LBB32_17
; %bb.18:
	s_or_b64 exec, exec, s[0:1]
.LBB32_19:
	s_or_b64 exec, exec, s[14:15]
	s_branch .LBB32_26
.LBB32_20:
                                        ; implicit-def: $vgpr1
	s_cbranch_execz .LBB32_26
; %bb.21:
	s_ashr_i32 s16, s7, 2
	v_cmp_gt_i32_e32 vcc, s16, v0
	v_mov_b32_e32 v1, 0
	s_and_saveexec_b64 s[0:1], vcc
	s_cbranch_execz .LBB32_25
; %bb.22:
	s_add_u32 s14, s8, s12
	s_addc_u32 s15, s9, s13
	s_add_u32 s14, s14, s10
	s_addc_u32 s15, s15, s11
	s_add_u32 s14, s2, s14
	v_lshlrev_b32_e32 v1, 4, v0
	s_addc_u32 s15, s3, s15
	s_mov_b32 s18, 0
	v_mov_b32_e32 v3, s15
	v_add_co_u32_e32 v2, vcc, s14, v1
	v_addc_co_u32_e32 v3, vcc, 0, v3, vcc
	s_lshl_b32 s17, s22, 4
	s_mov_b64 s[14:15], 0
	v_mov_b32_e32 v1, 0
	v_mov_b32_e32 v4, s18
	;; [unrolled: 1-line block ×3, first 2 shown]
.LBB32_23:                              ; =>This Inner Loop Header: Depth=1
	global_load_dwordx4 v[6:9], v[2:3], off
	v_add_co_u32_e32 v2, vcc, s17, v2
	v_add_u32_e32 v5, s22, v5
	v_addc_co_u32_e32 v3, vcc, v3, v4, vcc
	v_cmp_le_i32_e32 vcc, s16, v5
	s_or_b64 s[14:15], vcc, s[14:15]
	s_waitcnt vmcnt(0)
	v_fmac_f32_e32 v1, v6, v6
	v_fmac_f32_e32 v1, v7, v7
	;; [unrolled: 1-line block ×4, first 2 shown]
	s_andn2_b64 exec, exec, s[14:15]
	s_cbranch_execnz .LBB32_23
; %bb.24:
	s_or_b64 exec, exec, s[14:15]
.LBB32_25:
	s_or_b64 exec, exec, s[0:1]
.LBB32_26:
	v_mbcnt_lo_u32_b32 v2, -1, 0
	v_mbcnt_hi_u32_b32 v2, -1, v2
	v_and_b32_e32 v3, 63, v2
	v_cmp_ne_u32_e32 vcc, 63, v3
	v_addc_co_u32_e32 v4, vcc, 0, v2, vcc
	v_lshlrev_b32_e32 v4, 2, v4
	ds_bpermute_b32 v4, v4, v1
	v_and_b32_e32 v5, 0x3c0, v0
	v_sub_u32_e64 v5, s22, v5 clamp
	v_add_u32_e32 v6, 1, v2
	v_cmp_lt_u32_e32 vcc, v6, v5
	s_waitcnt lgkmcnt(0)
	v_add_f32_e32 v4, v1, v4
	v_cndmask_b32_e32 v1, v1, v4, vcc
	v_cmp_gt_u32_e32 vcc, 62, v3
	v_cndmask_b32_e64 v4, 0, 1, vcc
	v_lshlrev_b32_e32 v4, 1, v4
	v_add_lshl_u32 v4, v4, v2, 2
	ds_bpermute_b32 v4, v4, v1
	v_add_u32_e32 v6, 2, v2
	v_cmp_lt_u32_e32 vcc, v6, v5
	v_add_u32_e32 v6, 4, v2
	s_waitcnt lgkmcnt(0)
	v_add_f32_e32 v4, v1, v4
	v_cndmask_b32_e32 v1, v1, v4, vcc
	v_cmp_gt_u32_e32 vcc, 60, v3
	v_cndmask_b32_e64 v4, 0, 1, vcc
	v_lshlrev_b32_e32 v4, 2, v4
	v_add_lshl_u32 v4, v4, v2, 2
	ds_bpermute_b32 v4, v4, v1
	v_cmp_lt_u32_e32 vcc, v6, v5
	v_add_u32_e32 v6, 8, v2
	s_waitcnt lgkmcnt(0)
	v_add_f32_e32 v4, v1, v4
	v_cndmask_b32_e32 v1, v1, v4, vcc
	v_cmp_gt_u32_e32 vcc, 56, v3
	v_cndmask_b32_e64 v4, 0, 1, vcc
	v_lshlrev_b32_e32 v4, 3, v4
	v_add_lshl_u32 v4, v4, v2, 2
	ds_bpermute_b32 v4, v4, v1
	;; [unrolled: 10-line block ×3, first 2 shown]
	v_cmp_lt_u32_e32 vcc, v6, v5
	s_waitcnt lgkmcnt(0)
	v_add_f32_e32 v4, v1, v4
	v_cndmask_b32_e32 v1, v1, v4, vcc
	v_cmp_gt_u32_e32 vcc, 32, v3
	v_cndmask_b32_e64 v3, 0, 1, vcc
	v_lshlrev_b32_e32 v3, 5, v3
	v_add_lshl_u32 v3, v3, v2, 2
	ds_bpermute_b32 v3, v3, v1
	v_add_u32_e32 v4, 32, v2
	v_cmp_lt_u32_e32 vcc, v4, v5
	s_waitcnt lgkmcnt(0)
	v_add_f32_e32 v3, v1, v3
	v_cndmask_b32_e32 v1, v1, v3, vcc
	v_cmp_eq_u32_e32 vcc, 0, v2
	s_and_saveexec_b64 s[0:1], vcc
	s_cbranch_execz .LBB32_28
; %bb.27:
	v_lshrrev_b32_e32 v3, 4, v0
	v_and_b32_e32 v3, 60, v3
	ds_write_b32 v3, v1
.LBB32_28:
	s_or_b64 exec, exec, s[0:1]
	v_cmp_gt_u32_e32 vcc, 16, v0
	s_waitcnt lgkmcnt(0)
	s_barrier
	s_and_saveexec_b64 s[14:15], vcc
	s_cbranch_execz .LBB32_30
; %bb.29:
	v_lshlrev_b32_e32 v1, 2, v2
	ds_read_b32 v1, v1
	v_and_b32_e32 v3, 15, v2
	v_cmp_ne_u32_e32 vcc, 15, v3
	v_addc_co_u32_e32 v4, vcc, 0, v2, vcc
	v_lshlrev_b32_e32 v4, 2, v4
	s_waitcnt lgkmcnt(0)
	ds_bpermute_b32 v4, v4, v1
	s_add_i32 s0, s22, 63
	s_lshr_b32 s16, s0, 6
	v_add_u32_e32 v5, 1, v3
	v_cmp_gt_u32_e64 s[0:1], 14, v3
	v_cmp_gt_u32_e32 vcc, s16, v5
	v_cndmask_b32_e64 v5, 0, 1, s[0:1]
	s_waitcnt lgkmcnt(0)
	v_add_f32_e32 v4, v1, v4
	v_lshlrev_b32_e32 v5, 1, v5
	v_cndmask_b32_e32 v4, v1, v4, vcc
	v_add_lshl_u32 v5, v5, v2, 2
	ds_bpermute_b32 v5, v5, v4
	v_add_u32_e32 v6, 2, v3
	v_cmp_gt_u32_e64 s[0:1], s16, v6
	v_add_u32_e32 v6, 4, v3
	s_waitcnt lgkmcnt(0)
	v_add_f32_e32 v5, v4, v5
	v_cndmask_b32_e64 v4, v4, v5, s[0:1]
	v_cmp_gt_u32_e64 s[0:1], 12, v3
	v_cndmask_b32_e64 v5, 0, 1, s[0:1]
	v_lshlrev_b32_e32 v5, 2, v5
	v_add_lshl_u32 v5, v5, v2, 2
	ds_bpermute_b32 v5, v5, v4
	v_cmp_gt_u32_e64 s[0:1], s16, v6
	s_waitcnt lgkmcnt(0)
	v_add_f32_e32 v5, v4, v5
	v_cndmask_b32_e64 v4, v4, v5, s[0:1]
	v_cmp_gt_u32_e64 s[0:1], 8, v3
	v_cndmask_b32_e64 v5, 0, 1, s[0:1]
	v_lshlrev_b32_e32 v5, 3, v5
	v_add_lshl_u32 v2, v5, v2, 2
	ds_bpermute_b32 v2, v2, v4
	v_add_u32_e32 v3, 8, v3
	v_cmp_gt_u32_e64 s[0:1], s16, v3
	s_waitcnt lgkmcnt(0)
	v_add_f32_e32 v2, v4, v2
	v_cndmask_b32_e64 v2, v4, v2, s[0:1]
	v_cndmask_b32_e32 v1, v1, v2, vcc
.LBB32_30:
	s_or_b64 exec, exec, s[14:15]
	v_cmp_eq_u32_e32 vcc, 0, v0
	s_and_saveexec_b64 s[0:1], vcc
	s_cbranch_execz .LBB32_32
; %bb.31:
	v_cvt_f32_i32_e32 v2, s7
	s_load_dword s16, s[4:5], 0x40
	v_div_scale_f32 v3, s[14:15], v2, v2, v1
	v_rcp_f32_e32 v4, v3
	v_div_scale_f32 v5, vcc, v1, v2, v1
	s_mov_b32 s14, 0x800000
	v_fma_f32 v6, -v3, v4, 1.0
	v_fmac_f32_e32 v4, v6, v4
	v_mul_f32_e32 v6, v5, v4
	v_fma_f32 v7, -v3, v6, v5
	v_fmac_f32_e32 v6, v7, v4
	v_fma_f32 v3, -v3, v6, v5
	v_div_fmas_f32 v3, v3, v4, v6
	v_div_fixup_f32 v1, v3, v2, v1
	s_waitcnt lgkmcnt(0)
	v_add_f32_e32 v1, s16, v1
	v_mul_f32_e32 v2, 0x4b800000, v1
	v_cmp_gt_f32_e32 vcc, s14, v1
	v_cndmask_b32_e32 v1, v1, v2, vcc
	v_rsq_f32_e32 v1, v1
	v_mul_f32_e32 v2, 0x45800000, v1
	v_cndmask_b32_e32 v1, v1, v2, vcc
	v_mov_b32_e32 v2, 0
	ds_write_b32 v2, v1 offset:64
.LBB32_32:
	s_or_b64 exec, exec, s[0:1]
	s_ashr_i32 s0, s7, 31
	s_lshr_b32 s0, s0, 30
	s_add_i32 s0, s7, s0
	s_ashr_i32 s25, s0, 2
	v_cmp_gt_i32_e32 vcc, s25, v0
	s_waitcnt lgkmcnt(0)
	s_barrier
	s_and_saveexec_b64 s[0:1], vcc
	s_cbranch_execz .LBB32_44
; %bb.33:
	v_cvt_f32_u32_e32 v1, s22
	v_add_u32_e32 v3, s22, v0
	v_mov_b32_e32 v5, s22
	v_cmp_gt_i32_e32 vcc, s25, v3
	v_rcp_iflag_f32_e32 v1, v1
	v_max_i32_e32 v4, s25, v3
	v_addc_co_u32_e64 v3, s[0:1], v0, v5, vcc
	v_mul_f32_e32 v1, 0x4f7ffffe, v1
	v_cvt_u32_f32_e32 v1, v1
	s_sub_i32 s0, 0, s22
	v_sub_u32_e32 v3, v4, v3
	v_mov_b32_e32 v2, 0
	v_mul_lo_u32 v4, s0, v1
	v_mul_hi_u32 v4, v1, v4
	v_add_u32_e32 v1, v1, v4
	v_mul_hi_u32 v1, v3, v1
	v_mul_lo_u32 v4, v1, s22
	v_sub_u32_e32 v3, v3, v4
	v_add_u32_e32 v4, 1, v1
	v_cmp_le_u32_e64 s[0:1], s22, v3
	v_cndmask_b32_e64 v1, v1, v4, s[0:1]
	v_subrev_u32_e32 v4, s22, v3
	v_cndmask_b32_e64 v3, v3, v4, s[0:1]
	s_load_dwordx2 s[16:17], s[4:5], 0x0
	s_load_dwordx2 s[14:15], s[4:5], 0x38
	ds_read_b32 v2, v2 offset:64
	v_add_u32_e32 v4, 1, v1
	v_cmp_le_u32_e64 s[0:1], s22, v3
	v_cndmask_b32_e64 v1, v1, v4, s[0:1]
	v_addc_co_u32_e32 v8, vcc, 1, v1, vcc
	s_cmp_lg_u32 s22, 1
	v_cmp_gt_u32_e32 vcc, 2, v8
	s_cselect_b64 s[0:1], -1, 0
	s_mul_i32 s4, s6, s7
	s_mov_b32 s5, 0
	s_or_b64 s[0:1], vcc, s[0:1]
	s_mov_b64 s[6:7], 0
	s_and_saveexec_b64 s[18:19], s[0:1]
	s_xor_b64 s[0:1], exec, s[18:19]
	s_cbranch_execnz .LBB32_38
; %bb.34:
	s_andn2_saveexec_b64 s[18:19], s[0:1]
	s_cbranch_execnz .LBB32_39
.LBB32_35:
	s_or_b64 exec, exec, s[18:19]
	s_and_b64 exec, exec, s[6:7]
	s_cbranch_execnz .LBB32_42
	s_branch .LBB32_44
.LBB32_36:
                                        ; implicit-def: $sgpr16_sgpr17
	s_branch .LBB32_2
.LBB32_37:
                                        ; implicit-def: $sgpr0_sgpr1
	s_branch .LBB32_5
.LBB32_38:
	s_mov_b64 s[6:7], exec
                                        ; implicit-def: $vgpr8
	s_andn2_saveexec_b64 s[18:19], s[0:1]
	s_cbranch_execz .LBB32_35
.LBB32_39:
	s_lshl_b64 s[0:1], s[4:5], 2
	s_waitcnt lgkmcnt(0)
	s_add_u32 s26, s16, s0
	s_addc_u32 s0, s17, s1
	v_and_b32_e32 v9, -2, v8
	v_add_u32_e32 v1, 1, v0
	v_mov_b32_e32 v3, v2
	s_mov_b64 s[20:21], 0
	v_mov_b32_e32 v10, s24
	v_mov_b32_e32 v11, s15
	;; [unrolled: 1-line block ×5, first 2 shown]
	v_pk_mov_b32 v[6:7], v[0:1], v[0:1] op_sel:[0,1]
.LBB32_40:                              ; =>This Inner Loop Header: Depth=1
	v_mov_b32_e32 v4, v6
	v_lshlrev_b64 v[30:31], 4, v[4:5]
	v_add_co_u32_e32 v22, vcc, s23, v30
	v_addc_co_u32_e32 v23, vcc, v10, v31, vcc
	v_mov_b32_e32 v4, v7
	v_add_co_u32_e32 v24, vcc, s14, v30
	v_lshlrev_b64 v[32:33], 4, v[4:5]
	v_addc_co_u32_e32 v25, vcc, v11, v31, vcc
	v_add_co_u32_e32 v34, vcc, s23, v32
	v_addc_co_u32_e32 v35, vcc, v10, v33, vcc
	v_add_co_u32_e32 v36, vcc, s14, v32
	global_load_dwordx4 v[14:17], v[22:23], off
	global_load_dwordx4 v[18:21], v[24:25], off
	v_addc_co_u32_e32 v37, vcc, v11, v33, vcc
	global_load_dwordx4 v[22:25], v[34:35], off
	global_load_dwordx4 v[26:29], v[36:37], off
	v_add_u32_e32 v13, -2, v13
	v_cmp_eq_u32_e32 vcc, 0, v13
	v_add_co_u32_e64 v30, s[0:1], s26, v30
	v_add_u32_e32 v6, 2, v6
	v_add_u32_e32 v7, 2, v7
	v_addc_co_u32_e64 v31, s[0:1], v12, v31, s[0:1]
	s_or_b64 s[20:21], vcc, s[20:21]
	v_add_co_u32_e32 v32, vcc, s26, v32
	v_addc_co_u32_e32 v33, vcc, v12, v33, vcc
	s_waitcnt vmcnt(3)
	v_mov_b32_e32 v34, v14
	v_mov_b32_e32 v14, v16
	s_waitcnt vmcnt(2)
	v_mov_b32_e32 v16, v18
	s_waitcnt vmcnt(1)
	v_mov_b32_e32 v35, v22
	v_mov_b32_e32 v22, v15
	;; [unrolled: 1-line block ×5, first 2 shown]
	s_waitcnt vmcnt(0)
	v_mov_b32_e32 v17, v26
	v_mov_b32_e32 v26, v19
	;; [unrolled: 1-line block ×4, first 2 shown]
	v_pk_mul_f32 v[20:21], v[34:35], v[2:3]
	v_pk_mul_f32 v[22:23], v[22:23], v[2:3]
	v_pk_mul_f32 v[34:35], v[14:15], v[2:3]
	v_pk_mul_f32 v[24:25], v[24:25], v[2:3]
	v_pk_mul_f32 v[36:37], v[20:21], v[16:17]
	v_pk_mul_f32 v[14:15], v[22:23], v[26:27]
	v_pk_mul_f32 v[22:23], v[34:35], v[18:19]
	v_pk_mul_f32 v[16:17], v[24:25], v[28:29]
	v_mov_b32_e32 v18, v36
	v_mov_b32_e32 v19, v14
	;; [unrolled: 1-line block ×6, first 2 shown]
	global_store_dwordx4 v[30:31], v[18:21], off
	global_store_dwordx4 v[32:33], v[14:17], off
	s_andn2_b64 exec, exec, s[20:21]
	s_cbranch_execnz .LBB32_40
; %bb.41:
	s_or_b64 exec, exec, s[20:21]
	v_cmp_ne_u32_e32 vcc, v8, v9
	s_andn2_b64 s[0:1], s[6:7], exec
	s_and_b64 s[6:7], vcc, exec
	v_add_u32_e32 v0, v0, v9
	s_or_b64 s[6:7], s[0:1], s[6:7]
	s_or_b64 exec, exec, s[18:19]
	s_and_b64 exec, exec, s[6:7]
	s_cbranch_execz .LBB32_44
.LBB32_42:
	s_lshl_b64 s[0:1], s[4:5], 2
	v_mov_b32_e32 v1, 0
	s_waitcnt lgkmcnt(0)
	s_add_u32 s0, s16, s0
	v_lshlrev_b64 v[8:9], 4, v[0:1]
	s_addc_u32 s1, s17, s1
	s_lshl_b32 s6, s22, 4
	v_add_co_u32_e32 v1, vcc, s0, v8
	s_add_u32 s0, s8, s12
	v_mov_b32_e32 v4, s1
	s_addc_u32 s1, s9, s13
	s_add_u32 s0, s0, s10
	s_addc_u32 s1, s1, s11
	s_add_u32 s0, s2, s0
	v_addc_co_u32_e32 v4, vcc, v4, v9, vcc
	s_addc_u32 s1, s3, s1
	v_mov_b32_e32 v5, s1
	v_add_co_u32_e32 v6, vcc, s0, v8
	v_addc_co_u32_e32 v7, vcc, v5, v9, vcc
	v_add_co_u32_e32 v5, vcc, 8, v6
	v_addc_co_u32_e32 v6, vcc, 0, v7, vcc
	v_mov_b32_e32 v7, s15
	v_add_co_u32_e32 v8, vcc, s14, v8
	v_addc_co_u32_e32 v9, vcc, v9, v7, vcc
	v_add_co_u32_e32 v7, vcc, 8, v8
	v_mov_b32_e32 v3, v2
	v_addc_co_u32_e32 v8, vcc, 0, v9, vcc
	s_mov_b64 s[2:3], 0
	s_mov_b64 s[4:5], 0
.LBB32_43:                              ; =>This Inner Loop Header: Depth=1
	v_mov_b32_e32 v9, s5
	v_add_co_u32_e64 v20, s[0:1], s4, v5
	v_add_co_u32_e32 v18, vcc, s4, v7
	v_addc_co_u32_e64 v21, s[0:1], v6, v9, s[0:1]
	v_addc_co_u32_e32 v19, vcc, v8, v9, vcc
	global_load_dwordx4 v[10:13], v[20:21], off offset:-8
	global_load_dwordx4 v[14:17], v[18:19], off offset:-8
	v_add_co_u32_e32 v18, vcc, s4, v1
	v_add_u32_e32 v0, s22, v0
	s_add_u32 s4, s4, s6
	v_addc_co_u32_e32 v19, vcc, v4, v9, vcc
	s_addc_u32 s5, s5, 0
	v_cmp_le_i32_e32 vcc, s25, v0
	s_or_b64 s[2:3], vcc, s[2:3]
	s_waitcnt vmcnt(1)
	v_pk_mul_f32 v[10:11], v[10:11], v[2:3]
	v_pk_mul_f32 v[12:13], v[12:13], v[2:3]
	s_waitcnt vmcnt(0)
	v_pk_mul_f32 v[10:11], v[10:11], v[14:15]
	v_pk_mul_f32 v[12:13], v[12:13], v[16:17]
	global_store_dwordx4 v[18:19], v[10:13], off
	s_andn2_b64 exec, exec, s[2:3]
	s_cbranch_execnz .LBB32_43
.LBB32_44:
	s_endpgm
	.section	.rodata,"a",@progbits
	.p2align	6, 0x0
	.amdhsa_kernel _ZN4vllm15rms_norm_kernelIfLi4ELi4EEEvPT_PKS1_lllllS4_fii
		.amdhsa_group_segment_fixed_size 68
		.amdhsa_private_segment_fixed_size 0
		.amdhsa_kernarg_size 336
		.amdhsa_user_sgpr_count 6
		.amdhsa_user_sgpr_private_segment_buffer 1
		.amdhsa_user_sgpr_dispatch_ptr 0
		.amdhsa_user_sgpr_queue_ptr 0
		.amdhsa_user_sgpr_kernarg_segment_ptr 1
		.amdhsa_user_sgpr_dispatch_id 0
		.amdhsa_user_sgpr_flat_scratch_init 0
		.amdhsa_user_sgpr_kernarg_preload_length 0
		.amdhsa_user_sgpr_kernarg_preload_offset 0
		.amdhsa_user_sgpr_private_segment_size 0
		.amdhsa_uses_dynamic_stack 0
		.amdhsa_system_sgpr_private_segment_wavefront_offset 0
		.amdhsa_system_sgpr_workgroup_id_x 1
		.amdhsa_system_sgpr_workgroup_id_y 0
		.amdhsa_system_sgpr_workgroup_id_z 0
		.amdhsa_system_sgpr_workgroup_info 0
		.amdhsa_system_vgpr_workitem_id 0
		.amdhsa_next_free_vgpr 38
		.amdhsa_next_free_sgpr 35
		.amdhsa_accum_offset 40
		.amdhsa_reserve_vcc 1
		.amdhsa_reserve_flat_scratch 0
		.amdhsa_float_round_mode_32 0
		.amdhsa_float_round_mode_16_64 0
		.amdhsa_float_denorm_mode_32 3
		.amdhsa_float_denorm_mode_16_64 3
		.amdhsa_dx10_clamp 1
		.amdhsa_ieee_mode 1
		.amdhsa_fp16_overflow 0
		.amdhsa_tg_split 0
		.amdhsa_exception_fp_ieee_invalid_op 0
		.amdhsa_exception_fp_denorm_src 0
		.amdhsa_exception_fp_ieee_div_zero 0
		.amdhsa_exception_fp_ieee_overflow 0
		.amdhsa_exception_fp_ieee_underflow 0
		.amdhsa_exception_fp_ieee_inexact 0
		.amdhsa_exception_int_div_zero 0
	.end_amdhsa_kernel
	.section	.text._ZN4vllm15rms_norm_kernelIfLi4ELi4EEEvPT_PKS1_lllllS4_fii,"axG",@progbits,_ZN4vllm15rms_norm_kernelIfLi4ELi4EEEvPT_PKS1_lllllS4_fii,comdat
.Lfunc_end32:
	.size	_ZN4vllm15rms_norm_kernelIfLi4ELi4EEEvPT_PKS1_lllllS4_fii, .Lfunc_end32-_ZN4vllm15rms_norm_kernelIfLi4ELi4EEEvPT_PKS1_lllllS4_fii
                                        ; -- End function
	.section	.AMDGPU.csdata,"",@progbits
; Kernel info:
; codeLenInByte = 3952
; NumSgprs: 39
; NumVgprs: 38
; NumAgprs: 0
; TotalNumVgprs: 38
; ScratchSize: 0
; MemoryBound: 0
; FloatMode: 240
; IeeeMode: 1
; LDSByteSize: 68 bytes/workgroup (compile time only)
; SGPRBlocks: 4
; VGPRBlocks: 4
; NumSGPRsForWavesPerEU: 39
; NumVGPRsForWavesPerEU: 38
; AccumOffset: 40
; Occupancy: 8
; WaveLimiterHint : 0
; COMPUTE_PGM_RSRC2:SCRATCH_EN: 0
; COMPUTE_PGM_RSRC2:USER_SGPR: 6
; COMPUTE_PGM_RSRC2:TRAP_HANDLER: 0
; COMPUTE_PGM_RSRC2:TGID_X_EN: 1
; COMPUTE_PGM_RSRC2:TGID_Y_EN: 0
; COMPUTE_PGM_RSRC2:TGID_Z_EN: 0
; COMPUTE_PGM_RSRC2:TIDIG_COMP_CNT: 0
; COMPUTE_PGM_RSRC3_GFX90A:ACCUM_OFFSET: 9
; COMPUTE_PGM_RSRC3_GFX90A:TG_SPLIT: 0
	.section	.text._ZN4vllm15rms_norm_kernelIfLi2ELi4EEEvPT_PKS1_lllllS4_fii,"axG",@progbits,_ZN4vllm15rms_norm_kernelIfLi2ELi4EEEvPT_PKS1_lllllS4_fii,comdat
	.protected	_ZN4vllm15rms_norm_kernelIfLi2ELi4EEEvPT_PKS1_lllllS4_fii ; -- Begin function _ZN4vllm15rms_norm_kernelIfLi2ELi4EEEvPT_PKS1_lllllS4_fii
	.globl	_ZN4vllm15rms_norm_kernelIfLi2ELi4EEEvPT_PKS1_lllllS4_fii
	.p2align	8
	.type	_ZN4vllm15rms_norm_kernelIfLi2ELi4EEEvPT_PKS1_lllllS4_fii,@function
_ZN4vllm15rms_norm_kernelIfLi2ELi4EEEvPT_PKS1_lllllS4_fii: ; @_ZN4vllm15rms_norm_kernelIfLi2ELi4EEEvPT_PKS1_lllllS4_fii
; %bb.0:
	s_load_dwordx8 s[8:15], s[4:5], 0x10
	s_load_dwordx2 s[2:3], s[4:5], 0x30
	s_mov_b32 s0, 0
	s_waitcnt lgkmcnt(0)
	s_mul_i32 s1, s2, s15
	s_mul_hi_u32 s7, s2, s14
	s_add_i32 s1, s7, s1
	s_mul_i32 s3, s3, s14
	s_add_i32 s1, s1, s3
	s_cmp_lg_u64 s[0:1], 0
	s_mul_i32 s7, s2, s14
	s_cbranch_scc0 .LBB33_35
; %bb.1:
	s_ashr_i32 s2, s1, 31
	s_add_u32 s0, s7, s2
	s_mov_b32 s3, s2
	s_addc_u32 s1, s1, s2
	s_xor_b64 s[16:17], s[0:1], s[2:3]
	v_cvt_f32_u32_e32 v1, s16
	v_cvt_f32_u32_e32 v2, s17
	s_sub_u32 s0, 0, s16
	s_subb_u32 s1, 0, s17
	v_madmk_f32 v1, v2, 0x4f800000, v1
	v_rcp_f32_e32 v1, v1
	v_mul_f32_e32 v1, 0x5f7ffffc, v1
	v_mul_f32_e32 v2, 0x2f800000, v1
	v_trunc_f32_e32 v2, v2
	v_madmk_f32 v1, v2, 0xcf800000, v1
	v_cvt_u32_f32_e32 v2, v2
	v_cvt_u32_f32_e32 v1, v1
	v_readfirstlane_b32 s20, v2
	v_readfirstlane_b32 s21, v1
	s_mul_i32 s22, s0, s20
	s_mul_hi_u32 s24, s0, s21
	s_mul_i32 s23, s1, s21
	s_add_i32 s22, s24, s22
	s_add_i32 s22, s22, s23
	s_mul_i32 s25, s0, s21
	s_mul_hi_u32 s23, s21, s22
	s_mul_i32 s24, s21, s22
	s_mul_hi_u32 s21, s21, s25
	s_add_u32 s21, s21, s24
	s_addc_u32 s23, 0, s23
	s_mul_hi_u32 s26, s20, s25
	s_mul_i32 s25, s20, s25
	s_add_u32 s21, s21, s25
	s_mul_hi_u32 s24, s20, s22
	s_addc_u32 s21, s23, s26
	s_addc_u32 s23, s24, 0
	s_mul_i32 s22, s20, s22
	s_add_u32 s21, s21, s22
	s_addc_u32 s22, 0, s23
	v_add_co_u32_e32 v1, vcc, s21, v1
	s_cmp_lg_u64 vcc, 0
	s_addc_u32 s20, s20, s22
	v_readfirstlane_b32 s22, v1
	s_mul_i32 s21, s0, s20
	s_mul_hi_u32 s23, s0, s22
	s_add_i32 s21, s23, s21
	s_mul_i32 s1, s1, s22
	s_add_i32 s21, s21, s1
	s_mul_i32 s0, s0, s22
	s_mul_hi_u32 s23, s20, s0
	s_mul_i32 s24, s20, s0
	s_mul_i32 s26, s22, s21
	s_mul_hi_u32 s0, s22, s0
	s_mul_hi_u32 s25, s22, s21
	s_add_u32 s0, s0, s26
	s_addc_u32 s22, 0, s25
	s_add_u32 s0, s0, s24
	s_mul_hi_u32 s1, s20, s21
	s_addc_u32 s0, s22, s23
	s_addc_u32 s1, s1, 0
	s_mul_i32 s21, s20, s21
	s_add_u32 s0, s0, s21
	s_addc_u32 s1, 0, s1
	v_add_co_u32_e32 v1, vcc, s0, v1
	s_cmp_lg_u64 vcc, 0
	s_addc_u32 s0, s20, s1
	v_readfirstlane_b32 s20, v1
	s_mul_hi_u32 s1, s6, s0
	s_mul_i32 s0, s6, s0
	s_mul_hi_u32 s20, s6, s20
	s_add_u32 s0, s20, s0
	s_addc_u32 s1, 0, s1
	s_add_u32 s0, s0, 0
	s_addc_u32 s0, s1, 0
	s_addc_u32 s1, 0, 0
	s_add_u32 s20, s0, 0
	s_addc_u32 s21, 0, s1
	s_mul_i32 s0, s16, s21
	s_mul_hi_u32 s1, s16, s20
	s_add_i32 s0, s1, s0
	s_mul_i32 s1, s17, s20
	s_add_i32 s22, s0, s1
	s_mul_i32 s1, s16, s20
	v_mov_b32_e32 v1, s1
	s_sub_i32 s0, 0, s22
	v_sub_co_u32_e32 v1, vcc, s6, v1
	s_cmp_lg_u64 vcc, 0
	s_subb_u32 s23, s0, s17
	v_subrev_co_u32_e64 v2, s[0:1], s16, v1
	s_cmp_lg_u64 s[0:1], 0
	s_subb_u32 s0, s23, 0
	s_cmp_ge_u32 s0, s17
	v_readfirstlane_b32 s23, v2
	s_cselect_b32 s1, -1, 0
	s_cmp_ge_u32 s23, s16
	s_cselect_b32 s23, -1, 0
	s_cmp_eq_u32 s0, s17
	s_cselect_b32 s0, s23, s1
	s_add_u32 s1, s20, 1
	s_addc_u32 s23, s21, 0
	s_add_u32 s24, s20, 2
	s_addc_u32 s25, s21, 0
	s_cmp_lg_u32 s0, 0
	s_cselect_b32 s0, s24, s1
	s_cselect_b32 s1, s25, s23
	s_cmp_lg_u64 vcc, 0
	s_subb_u32 s22, 0, s22
	s_cmp_ge_u32 s22, s17
	v_readfirstlane_b32 s24, v1
	s_cselect_b32 s23, -1, 0
	s_cmp_ge_u32 s24, s16
	s_cselect_b32 s16, -1, 0
	s_cmp_eq_u32 s22, s17
	s_cselect_b32 s16, s16, s23
	s_cmp_lg_u32 s16, 0
	s_cselect_b32 s1, s1, s21
	s_cselect_b32 s0, s0, s20
	s_xor_b64 s[0:1], s[0:1], s[2:3]
	s_sub_u32 s16, s0, s2
	s_subb_u32 s17, s1, s2
	s_cbranch_execnz .LBB33_3
.LBB33_2:
	v_cvt_f32_u32_e32 v1, s7
	s_sub_i32 s0, 0, s7
	s_mov_b32 s17, 0
	v_rcp_iflag_f32_e32 v1, v1
	v_mul_f32_e32 v1, 0x4f7ffffe, v1
	v_cvt_u32_f32_e32 v1, v1
	v_readfirstlane_b32 s1, v1
	s_mul_i32 s0, s0, s1
	s_mul_hi_u32 s0, s1, s0
	s_add_i32 s1, s1, s0
	s_mul_hi_u32 s0, s6, s1
	s_mul_i32 s2, s0, s7
	s_sub_i32 s2, s6, s2
	s_add_i32 s1, s0, 1
	s_sub_i32 s3, s2, s7
	s_cmp_ge_u32 s2, s7
	s_cselect_b32 s0, s1, s0
	s_cselect_b32 s2, s3, s2
	s_add_i32 s1, s0, 1
	s_cmp_ge_u32 s2, s7
	s_cselect_b32 s16, s1, s0
.LBB33_3:
	s_mul_i32 s0, s16, s7
	s_load_dwordx2 s[2:3], s[4:5], 0x8
	s_sub_i32 s18, s6, s0
	s_ashr_i32 s19, s18, 31
	s_or_b64 s[0:1], s[18:19], s[14:15]
	s_mov_b32 s0, 0
	s_cmp_lg_u64 s[0:1], 0
	s_cbranch_scc0 .LBB33_36
; %bb.4:
	s_ashr_i32 s20, s15, 31
	s_add_u32 s0, s14, s20
	s_mov_b32 s21, s20
	s_addc_u32 s1, s15, s20
	s_xor_b64 s[24:25], s[0:1], s[20:21]
	v_cvt_f32_u32_e32 v1, s24
	v_cvt_f32_u32_e32 v2, s25
	s_sub_u32 s0, 0, s24
	s_subb_u32 s1, 0, s25
	v_madmk_f32 v1, v2, 0x4f800000, v1
	v_rcp_f32_e32 v1, v1
	v_mul_f32_e32 v1, 0x5f7ffffc, v1
	v_mul_f32_e32 v2, 0x2f800000, v1
	v_trunc_f32_e32 v2, v2
	v_madmk_f32 v1, v2, 0xcf800000, v1
	v_cvt_u32_f32_e32 v2, v2
	v_cvt_u32_f32_e32 v1, v1
	v_readfirstlane_b32 s7, v2
	v_readfirstlane_b32 s26, v1
	s_mul_i32 s27, s0, s7
	s_mul_hi_u32 s29, s0, s26
	s_mul_i32 s28, s1, s26
	s_add_i32 s27, s29, s27
	s_add_i32 s27, s27, s28
	s_mul_i32 s30, s0, s26
	s_mul_hi_u32 s28, s26, s27
	s_mul_i32 s29, s26, s27
	s_mul_hi_u32 s26, s26, s30
	s_add_u32 s26, s26, s29
	s_addc_u32 s28, 0, s28
	s_mul_hi_u32 s31, s7, s30
	s_mul_i32 s30, s7, s30
	s_add_u32 s26, s26, s30
	s_mul_hi_u32 s29, s7, s27
	s_addc_u32 s26, s28, s31
	s_addc_u32 s28, s29, 0
	s_mul_i32 s27, s7, s27
	s_add_u32 s26, s26, s27
	s_addc_u32 s27, 0, s28
	v_add_co_u32_e32 v1, vcc, s26, v1
	s_cmp_lg_u64 vcc, 0
	s_addc_u32 s7, s7, s27
	v_readfirstlane_b32 s27, v1
	s_mul_i32 s26, s0, s7
	s_mul_hi_u32 s28, s0, s27
	s_add_i32 s26, s28, s26
	s_mul_i32 s1, s1, s27
	s_add_i32 s26, s26, s1
	s_mul_i32 s0, s0, s27
	s_mul_hi_u32 s28, s7, s0
	s_mul_i32 s29, s7, s0
	s_mul_i32 s31, s27, s26
	s_mul_hi_u32 s0, s27, s0
	s_mul_hi_u32 s30, s27, s26
	s_add_u32 s0, s0, s31
	s_addc_u32 s27, 0, s30
	s_add_u32 s0, s0, s29
	s_mul_hi_u32 s1, s7, s26
	s_addc_u32 s0, s27, s28
	s_addc_u32 s1, s1, 0
	s_mul_i32 s26, s7, s26
	s_add_u32 s0, s0, s26
	s_addc_u32 s1, 0, s1
	v_add_co_u32_e32 v1, vcc, s0, v1
	s_cmp_lg_u64 vcc, 0
	s_addc_u32 s7, s7, s1
	s_add_u32 s0, s18, s19
	s_mov_b32 s26, s19
	s_mov_b32 s27, s19
	s_addc_u32 s1, s19, s19
	s_xor_b64 s[28:29], s[0:1], s[26:27]
	v_readfirstlane_b32 s30, v1
	s_mul_i32 s1, s28, s7
	s_mul_hi_u32 s31, s28, s30
	s_mul_hi_u32 s0, s28, s7
	s_add_u32 s1, s31, s1
	s_addc_u32 s0, 0, s0
	s_mul_hi_u32 s33, s29, s30
	s_mul_i32 s30, s29, s30
	s_add_u32 s1, s1, s30
	s_mul_hi_u32 s31, s29, s7
	s_addc_u32 s0, s0, s33
	s_addc_u32 s1, s31, 0
	s_mul_i32 s7, s29, s7
	s_add_u32 s7, s0, s7
	s_addc_u32 s30, 0, s1
	s_mul_i32 s0, s24, s30
	s_mul_hi_u32 s1, s24, s7
	s_add_i32 s0, s1, s0
	s_mul_i32 s1, s25, s7
	s_add_i32 s31, s0, s1
	s_mul_i32 s1, s24, s7
	v_mov_b32_e32 v1, s1
	s_sub_i32 s0, s29, s31
	v_sub_co_u32_e32 v1, vcc, s28, v1
	s_cmp_lg_u64 vcc, 0
	s_subb_u32 s28, s0, s25
	v_subrev_co_u32_e64 v2, s[0:1], s24, v1
	s_cmp_lg_u64 s[0:1], 0
	s_subb_u32 s0, s28, 0
	s_cmp_ge_u32 s0, s25
	v_readfirstlane_b32 s28, v2
	s_cselect_b32 s1, -1, 0
	s_cmp_ge_u32 s28, s24
	s_cselect_b32 s28, -1, 0
	s_cmp_eq_u32 s0, s25
	s_cselect_b32 s0, s28, s1
	s_add_u32 s1, s7, 1
	s_addc_u32 s28, s30, 0
	s_add_u32 s33, s7, 2
	s_addc_u32 s34, s30, 0
	s_cmp_lg_u32 s0, 0
	s_cselect_b32 s0, s33, s1
	s_cselect_b32 s1, s34, s28
	s_cmp_lg_u64 vcc, 0
	s_subb_u32 s28, s29, s31
	s_cmp_ge_u32 s28, s25
	v_readfirstlane_b32 s31, v1
	s_cselect_b32 s29, -1, 0
	s_cmp_ge_u32 s31, s24
	s_cselect_b32 s24, -1, 0
	s_cmp_eq_u32 s28, s25
	s_cselect_b32 s24, s24, s29
	s_cmp_lg_u32 s24, 0
	s_cselect_b32 s1, s1, s30
	s_cselect_b32 s0, s0, s7
	s_xor_b64 s[20:21], s[26:27], s[20:21]
	s_xor_b64 s[0:1], s[0:1], s[20:21]
	s_sub_u32 s0, s0, s20
	s_subb_u32 s1, s1, s21
	s_cbranch_execnz .LBB33_6
.LBB33_5:
	v_cvt_f32_u32_e32 v1, s14
	s_sub_i32 s0, 0, s14
	s_mov_b32 s1, 0
	v_rcp_iflag_f32_e32 v1, v1
	v_mul_f32_e32 v1, 0x4f7ffffe, v1
	v_cvt_u32_f32_e32 v1, v1
	v_readfirstlane_b32 s7, v1
	s_mul_i32 s0, s0, s7
	s_mul_hi_u32 s0, s7, s0
	s_add_i32 s7, s7, s0
	s_mul_hi_u32 s0, s18, s7
	s_mul_i32 s20, s0, s14
	s_sub_i32 s20, s18, s20
	s_add_i32 s7, s0, 1
	s_sub_i32 s21, s20, s14
	s_cmp_ge_u32 s20, s14
	s_cselect_b32 s0, s7, s0
	s_cselect_b32 s20, s21, s20
	s_add_i32 s7, s0, 1
	s_cmp_ge_u32 s20, s14
	s_cselect_b32 s0, s7, s0
.LBB33_6:
	s_mul_i32 s7, s0, s15
	s_mul_hi_u32 s15, s0, s14
	s_add_i32 s7, s15, s7
	s_mul_i32 s15, s1, s14
	s_add_i32 s7, s7, s15
	s_mul_i32 s14, s0, s14
	s_sub_u32 s18, s18, s14
	s_subb_u32 s7, s19, s7
	s_bfe_i64 s[14:15], s[16:17], 0x200000
	s_mul_i32 s13, s16, s13
	s_mul_hi_u32 s14, s16, s12
	s_add_i32 s13, s14, s13
	s_mul_i32 s14, s15, s12
	s_add_i32 s13, s13, s14
	s_mul_i32 s12, s16, s12
	s_lshl_b64 s[12:13], s[12:13], 2
	s_waitcnt lgkmcnt(0)
	s_add_u32 s16, s2, s12
	s_addc_u32 s17, s3, s13
	s_bfe_i64 s[14:15], s[0:1], 0x200000
	s_mul_i32 s1, s0, s11
	s_mul_hi_u32 s11, s0, s10
	s_add_i32 s1, s11, s1
	s_mul_i32 s11, s15, s10
	s_add_i32 s1, s1, s11
	s_mul_i32 s0, s0, s10
	s_lshl_b64 s[10:11], s[0:1], 2
	s_add_u32 s14, s16, s10
	s_mul_i32 s0, s18, s9
	s_mul_hi_u32 s1, s18, s8
	s_addc_u32 s15, s17, s11
	s_add_i32 s0, s1, s0
	s_mul_i32 s7, s7, s8
	s_add_i32 s1, s0, s7
	s_load_dword s7, s[4:5], 0x48
	s_load_dword s16, s[4:5], 0x5c
	s_mul_i32 s0, s18, s8
	s_lshl_b64 s[8:9], s[0:1], 2
	s_add_u32 s14, s14, s8
	s_addc_u32 s15, s15, s9
	s_waitcnt lgkmcnt(0)
	s_and_b32 s24, s16, 0xffff
	s_and_b32 s0, s14, 7
	s_mov_b32 s1, 0
	s_cmp_lg_u64 s[0:1], 0
	s_cselect_b64 s[0:1], -1, 0
	s_bitcmp1_b32 s7, 0
	s_cselect_b64 s[16:17], -1, 0
	s_or_b64 s[0:1], s[16:17], s[0:1]
	s_and_b64 vcc, exec, s[0:1]
	s_cbranch_vccz .LBB33_19
; %bb.7:
	s_sub_i32 s0, 0, s14
	s_bfe_u32 s0, s0, 0x10002
	s_min_i32 s0, s0, s7
	v_cmp_gt_i32_e32 vcc, s0, v0
	v_mov_b32_e32 v1, 0
	s_and_saveexec_b64 s[16:17], vcc
	s_cbranch_execz .LBB33_10
; %bb.8:
	s_lshl_b32 s1, s24, 2
	s_mov_b32 s20, 0
	v_mov_b32_e32 v1, 0
	s_mov_b64 s[18:19], s[14:15]
.LBB33_9:                               ; =>This Inner Loop Header: Depth=1
	s_load_dword s21, s[18:19], 0x0
	s_add_i32 s20, s20, s24
	s_add_u32 s18, s18, s1
	s_addc_u32 s19, s19, 0
	s_cmp_ge_i32 s20, s0
	s_waitcnt lgkmcnt(0)
	v_fmac_f32_e64 v1, s21, s21
	s_cbranch_scc0 .LBB33_9
.LBB33_10:
	s_or_b64 exec, exec, s[16:17]
	s_sub_i32 s20, s7, s0
	s_lshr_b32 s16, s20, 31
	s_add_i32 s16, s20, s16
	s_ashr_i32 s21, s16, 1
	s_ashr_i32 s1, s0, 31
	v_cmp_gt_i32_e32 vcc, s21, v0
	s_and_saveexec_b64 s[16:17], vcc
	s_cbranch_execz .LBB33_14
; %bb.11:
	s_add_u32 s18, s8, s12
	s_addc_u32 s19, s9, s13
	s_add_u32 s22, s18, s10
	s_addc_u32 s23, s19, s11
	s_lshl_b64 s[18:19], s[0:1], 2
	s_add_u32 s18, s2, s18
	s_addc_u32 s19, s3, s19
	s_add_u32 s18, s18, s22
	v_lshlrev_b32_e32 v2, 3, v0
	s_addc_u32 s19, s19, s23
	v_mov_b32_e32 v3, s19
	v_add_co_u32_e32 v2, vcc, s18, v2
	v_addc_co_u32_e32 v3, vcc, 0, v3, vcc
	s_mov_b32 s25, 0
	v_add_co_u32_e32 v2, vcc, 4, v2
	v_addc_co_u32_e32 v3, vcc, 0, v3, vcc
	s_lshl_b32 s22, s24, 3
	s_mov_b64 s[18:19], 0
	v_mov_b32_e32 v4, s25
	v_mov_b32_e32 v5, v0
.LBB33_12:                              ; =>This Inner Loop Header: Depth=1
	global_load_dwordx2 v[6:7], v[2:3], off offset:-4
	v_add_co_u32_e32 v2, vcc, s22, v2
	v_add_u32_e32 v5, s24, v5
	v_addc_co_u32_e32 v3, vcc, v3, v4, vcc
	v_cmp_le_i32_e32 vcc, s21, v5
	s_or_b64 s[18:19], vcc, s[18:19]
	s_waitcnt vmcnt(0)
	v_fmac_f32_e32 v1, v6, v6
	v_fmac_f32_e32 v1, v7, v7
	s_andn2_b64 exec, exec, s[18:19]
	s_cbranch_execnz .LBB33_12
; %bb.13:
	s_or_b64 exec, exec, s[18:19]
.LBB33_14:
	s_or_b64 exec, exec, s[16:17]
	v_lshl_add_u32 v2, s21, 1, v0
	v_cmp_gt_i32_e32 vcc, s20, v2
	s_and_saveexec_b64 s[16:17], vcc
	s_cbranch_execz .LBB33_18
; %bb.15:
	s_add_u32 s18, s8, s12
	s_addc_u32 s19, s9, s13
	s_add_u32 s18, s18, s10
	s_addc_u32 s19, s19, s11
	s_lshl_b64 s[0:1], s[0:1], 2
	s_add_u32 s0, s18, s0
	s_addc_u32 s1, s19, s1
	v_ashrrev_i32_e32 v3, 31, v2
	s_add_u32 s0, s2, s0
	v_lshlrev_b64 v[4:5], 2, v[2:3]
	s_addc_u32 s1, s3, s1
	v_mov_b32_e32 v3, s1
	v_add_co_u32_e32 v4, vcc, s0, v4
	s_mov_b32 s19, 0
	v_addc_co_u32_e32 v5, vcc, v3, v5, vcc
	s_lshl_b32 s18, s24, 2
	s_mov_b64 s[0:1], 0
	v_mov_b32_e32 v3, s19
.LBB33_16:                              ; =>This Inner Loop Header: Depth=1
	global_load_dword v6, v[4:5], off
	v_add_co_u32_e32 v4, vcc, s18, v4
	v_add_u32_e32 v2, s24, v2
	v_addc_co_u32_e32 v5, vcc, v5, v3, vcc
	v_cmp_le_i32_e32 vcc, s20, v2
	s_or_b64 s[0:1], vcc, s[0:1]
	s_waitcnt vmcnt(0)
	v_fmac_f32_e32 v1, v6, v6
	s_andn2_b64 exec, exec, s[0:1]
	s_cbranch_execnz .LBB33_16
; %bb.17:
	s_or_b64 exec, exec, s[0:1]
.LBB33_18:
	s_or_b64 exec, exec, s[16:17]
	s_branch .LBB33_25
.LBB33_19:
                                        ; implicit-def: $vgpr1
	s_cbranch_execz .LBB33_25
; %bb.20:
	s_ashr_i32 s18, s7, 1
	v_cmp_gt_i32_e32 vcc, s18, v0
	v_mov_b32_e32 v1, 0
	s_and_saveexec_b64 s[0:1], vcc
	s_cbranch_execz .LBB33_24
; %bb.21:
	s_add_u32 s16, s8, s12
	s_addc_u32 s17, s9, s13
	s_add_u32 s16, s16, s10
	s_addc_u32 s17, s17, s11
	s_add_u32 s16, s2, s16
	v_lshlrev_b32_e32 v1, 3, v0
	s_addc_u32 s17, s3, s17
	v_mov_b32_e32 v2, s17
	v_add_co_u32_e32 v1, vcc, s16, v1
	v_addc_co_u32_e32 v3, vcc, 0, v2, vcc
	s_mov_b32 s20, 0
	v_add_co_u32_e32 v2, vcc, 4, v1
	v_addc_co_u32_e32 v3, vcc, 0, v3, vcc
	s_lshl_b32 s19, s24, 3
	s_mov_b64 s[16:17], 0
	v_mov_b32_e32 v1, 0
	v_mov_b32_e32 v4, s20
	v_mov_b32_e32 v5, v0
.LBB33_22:                              ; =>This Inner Loop Header: Depth=1
	global_load_dwordx2 v[6:7], v[2:3], off offset:-4
	v_add_co_u32_e32 v2, vcc, s19, v2
	v_add_u32_e32 v5, s24, v5
	v_addc_co_u32_e32 v3, vcc, v3, v4, vcc
	v_cmp_le_i32_e32 vcc, s18, v5
	s_or_b64 s[16:17], vcc, s[16:17]
	s_waitcnt vmcnt(0)
	v_fmac_f32_e32 v1, v6, v6
	v_fmac_f32_e32 v1, v7, v7
	s_andn2_b64 exec, exec, s[16:17]
	s_cbranch_execnz .LBB33_22
; %bb.23:
	s_or_b64 exec, exec, s[16:17]
.LBB33_24:
	s_or_b64 exec, exec, s[0:1]
.LBB33_25:
	v_mbcnt_lo_u32_b32 v2, -1, 0
	v_mbcnt_hi_u32_b32 v2, -1, v2
	v_and_b32_e32 v3, 63, v2
	v_cmp_ne_u32_e32 vcc, 63, v3
	v_addc_co_u32_e32 v4, vcc, 0, v2, vcc
	v_lshlrev_b32_e32 v4, 2, v4
	ds_bpermute_b32 v4, v4, v1
	v_and_b32_e32 v5, 0x3c0, v0
	v_sub_u32_e64 v5, s24, v5 clamp
	v_add_u32_e32 v6, 1, v2
	v_cmp_lt_u32_e32 vcc, v6, v5
	s_waitcnt lgkmcnt(0)
	v_add_f32_e32 v4, v1, v4
	v_cndmask_b32_e32 v1, v1, v4, vcc
	v_cmp_gt_u32_e32 vcc, 62, v3
	v_cndmask_b32_e64 v4, 0, 1, vcc
	v_lshlrev_b32_e32 v4, 1, v4
	v_add_lshl_u32 v4, v4, v2, 2
	ds_bpermute_b32 v4, v4, v1
	v_add_u32_e32 v6, 2, v2
	v_cmp_lt_u32_e32 vcc, v6, v5
	v_add_u32_e32 v6, 4, v2
	s_waitcnt lgkmcnt(0)
	v_add_f32_e32 v4, v1, v4
	v_cndmask_b32_e32 v1, v1, v4, vcc
	v_cmp_gt_u32_e32 vcc, 60, v3
	v_cndmask_b32_e64 v4, 0, 1, vcc
	v_lshlrev_b32_e32 v4, 2, v4
	v_add_lshl_u32 v4, v4, v2, 2
	ds_bpermute_b32 v4, v4, v1
	v_cmp_lt_u32_e32 vcc, v6, v5
	v_add_u32_e32 v6, 8, v2
	s_waitcnt lgkmcnt(0)
	v_add_f32_e32 v4, v1, v4
	v_cndmask_b32_e32 v1, v1, v4, vcc
	v_cmp_gt_u32_e32 vcc, 56, v3
	v_cndmask_b32_e64 v4, 0, 1, vcc
	v_lshlrev_b32_e32 v4, 3, v4
	v_add_lshl_u32 v4, v4, v2, 2
	ds_bpermute_b32 v4, v4, v1
	;; [unrolled: 10-line block ×3, first 2 shown]
	v_cmp_lt_u32_e32 vcc, v6, v5
	s_waitcnt lgkmcnt(0)
	v_add_f32_e32 v4, v1, v4
	v_cndmask_b32_e32 v1, v1, v4, vcc
	v_cmp_gt_u32_e32 vcc, 32, v3
	v_cndmask_b32_e64 v3, 0, 1, vcc
	v_lshlrev_b32_e32 v3, 5, v3
	v_add_lshl_u32 v3, v3, v2, 2
	ds_bpermute_b32 v3, v3, v1
	v_add_u32_e32 v4, 32, v2
	v_cmp_lt_u32_e32 vcc, v4, v5
	s_waitcnt lgkmcnt(0)
	v_add_f32_e32 v3, v1, v3
	v_cndmask_b32_e32 v1, v1, v3, vcc
	v_cmp_eq_u32_e32 vcc, 0, v2
	s_and_saveexec_b64 s[0:1], vcc
	s_cbranch_execz .LBB33_27
; %bb.26:
	v_lshrrev_b32_e32 v3, 4, v0
	v_and_b32_e32 v3, 60, v3
	ds_write_b32 v3, v1
.LBB33_27:
	s_or_b64 exec, exec, s[0:1]
	v_cmp_gt_u32_e32 vcc, 16, v0
	s_waitcnt lgkmcnt(0)
	s_barrier
	s_and_saveexec_b64 s[16:17], vcc
	s_cbranch_execz .LBB33_29
; %bb.28:
	v_lshlrev_b32_e32 v1, 2, v2
	ds_read_b32 v1, v1
	v_and_b32_e32 v3, 15, v2
	v_cmp_ne_u32_e32 vcc, 15, v3
	v_addc_co_u32_e32 v4, vcc, 0, v2, vcc
	v_lshlrev_b32_e32 v4, 2, v4
	s_waitcnt lgkmcnt(0)
	ds_bpermute_b32 v4, v4, v1
	s_add_i32 s0, s24, 63
	s_lshr_b32 s18, s0, 6
	v_add_u32_e32 v5, 1, v3
	v_cmp_gt_u32_e64 s[0:1], 14, v3
	v_cmp_gt_u32_e32 vcc, s18, v5
	v_cndmask_b32_e64 v5, 0, 1, s[0:1]
	s_waitcnt lgkmcnt(0)
	v_add_f32_e32 v4, v1, v4
	v_lshlrev_b32_e32 v5, 1, v5
	v_cndmask_b32_e32 v4, v1, v4, vcc
	v_add_lshl_u32 v5, v5, v2, 2
	ds_bpermute_b32 v5, v5, v4
	v_add_u32_e32 v6, 2, v3
	v_cmp_gt_u32_e64 s[0:1], s18, v6
	v_add_u32_e32 v6, 4, v3
	s_waitcnt lgkmcnt(0)
	v_add_f32_e32 v5, v4, v5
	v_cndmask_b32_e64 v4, v4, v5, s[0:1]
	v_cmp_gt_u32_e64 s[0:1], 12, v3
	v_cndmask_b32_e64 v5, 0, 1, s[0:1]
	v_lshlrev_b32_e32 v5, 2, v5
	v_add_lshl_u32 v5, v5, v2, 2
	ds_bpermute_b32 v5, v5, v4
	v_cmp_gt_u32_e64 s[0:1], s18, v6
	s_waitcnt lgkmcnt(0)
	v_add_f32_e32 v5, v4, v5
	v_cndmask_b32_e64 v4, v4, v5, s[0:1]
	v_cmp_gt_u32_e64 s[0:1], 8, v3
	v_cndmask_b32_e64 v5, 0, 1, s[0:1]
	v_lshlrev_b32_e32 v5, 3, v5
	v_add_lshl_u32 v2, v5, v2, 2
	ds_bpermute_b32 v2, v2, v4
	v_add_u32_e32 v3, 8, v3
	v_cmp_gt_u32_e64 s[0:1], s18, v3
	s_waitcnt lgkmcnt(0)
	v_add_f32_e32 v2, v4, v2
	v_cndmask_b32_e64 v2, v4, v2, s[0:1]
	v_cndmask_b32_e32 v1, v1, v2, vcc
.LBB33_29:
	s_or_b64 exec, exec, s[16:17]
	v_cmp_eq_u32_e32 vcc, 0, v0
	s_and_saveexec_b64 s[0:1], vcc
	s_cbranch_execz .LBB33_31
; %bb.30:
	v_cvt_f32_i32_e32 v2, s7
	s_load_dword s18, s[4:5], 0x40
	v_div_scale_f32 v3, s[16:17], v2, v2, v1
	v_rcp_f32_e32 v4, v3
	v_div_scale_f32 v5, vcc, v1, v2, v1
	s_mov_b32 s16, 0x800000
	v_fma_f32 v6, -v3, v4, 1.0
	v_fmac_f32_e32 v4, v6, v4
	v_mul_f32_e32 v6, v5, v4
	v_fma_f32 v7, -v3, v6, v5
	v_fmac_f32_e32 v6, v7, v4
	v_fma_f32 v3, -v3, v6, v5
	v_div_fmas_f32 v3, v3, v4, v6
	v_div_fixup_f32 v1, v3, v2, v1
	s_waitcnt lgkmcnt(0)
	v_add_f32_e32 v1, s18, v1
	v_mul_f32_e32 v2, 0x4b800000, v1
	v_cmp_gt_f32_e32 vcc, s16, v1
	v_cndmask_b32_e32 v1, v1, v2, vcc
	v_rsq_f32_e32 v1, v1
	v_mul_f32_e32 v2, 0x45800000, v1
	v_cndmask_b32_e32 v1, v1, v2, vcc
	v_mov_b32_e32 v2, 0
	ds_write_b32 v2, v1 offset:64
.LBB33_31:
	s_or_b64 exec, exec, s[0:1]
	s_lshr_b32 s0, s7, 31
	s_add_i32 s0, s7, s0
	s_ashr_i32 s25, s0, 1
	v_cmp_gt_i32_e32 vcc, s25, v0
	s_waitcnt lgkmcnt(0)
	s_barrier
	s_and_saveexec_b64 s[0:1], vcc
	s_cbranch_execz .LBB33_43
; %bb.32:
	v_cvt_f32_u32_e32 v1, s24
	v_add_u32_e32 v3, s24, v0
	v_mov_b32_e32 v5, s24
	v_cmp_gt_i32_e32 vcc, s25, v3
	v_rcp_iflag_f32_e32 v1, v1
	v_max_i32_e32 v4, s25, v3
	v_addc_co_u32_e64 v3, s[0:1], v0, v5, vcc
	v_mul_f32_e32 v1, 0x4f7ffffe, v1
	v_cvt_u32_f32_e32 v1, v1
	s_sub_i32 s0, 0, s24
	v_sub_u32_e32 v3, v4, v3
	v_mov_b32_e32 v2, 0
	v_mul_lo_u32 v4, s0, v1
	v_mul_hi_u32 v4, v1, v4
	v_add_u32_e32 v1, v1, v4
	v_mul_hi_u32 v1, v3, v1
	v_mul_lo_u32 v4, v1, s24
	v_sub_u32_e32 v3, v3, v4
	v_add_u32_e32 v4, 1, v1
	v_cmp_le_u32_e64 s[0:1], s24, v3
	v_cndmask_b32_e64 v1, v1, v4, s[0:1]
	v_subrev_u32_e32 v4, s24, v3
	v_cndmask_b32_e64 v3, v3, v4, s[0:1]
	s_load_dwordx2 s[16:17], s[4:5], 0x0
	s_load_dwordx2 s[18:19], s[4:5], 0x38
	ds_read_b32 v2, v2 offset:64
	v_add_u32_e32 v4, 1, v1
	v_cmp_le_u32_e64 s[0:1], s24, v3
	v_cndmask_b32_e64 v1, v1, v4, s[0:1]
	v_addc_co_u32_e32 v8, vcc, 1, v1, vcc
	s_cmp_lg_u32 s24, 1
	v_cmp_gt_u32_e32 vcc, 2, v8
	s_cselect_b64 s[0:1], -1, 0
	s_mul_i32 s4, s6, s7
	s_mov_b32 s5, 0
	s_or_b64 s[0:1], vcc, s[0:1]
	s_mov_b64 s[6:7], 0
	s_and_saveexec_b64 s[20:21], s[0:1]
	s_xor_b64 s[0:1], exec, s[20:21]
	s_cbranch_execnz .LBB33_37
; %bb.33:
	s_andn2_saveexec_b64 s[20:21], s[0:1]
	s_cbranch_execnz .LBB33_38
.LBB33_34:
	s_or_b64 exec, exec, s[20:21]
	s_and_b64 exec, exec, s[6:7]
	s_cbranch_execnz .LBB33_41
	s_branch .LBB33_43
.LBB33_35:
                                        ; implicit-def: $sgpr16_sgpr17
	s_branch .LBB33_2
.LBB33_36:
                                        ; implicit-def: $sgpr0_sgpr1
	s_branch .LBB33_5
.LBB33_37:
	s_mov_b64 s[6:7], exec
                                        ; implicit-def: $vgpr8
	s_andn2_saveexec_b64 s[20:21], s[0:1]
	s_cbranch_execz .LBB33_34
.LBB33_38:
	s_lshl_b64 s[0:1], s[4:5], 2
	s_waitcnt lgkmcnt(0)
	s_add_u32 s26, s16, s0
	s_addc_u32 s0, s17, s1
	v_and_b32_e32 v9, -2, v8
	v_add_u32_e32 v1, 1, v0
	v_mov_b32_e32 v3, v2
	s_mov_b64 s[22:23], 0
	v_mov_b32_e32 v10, s15
	v_mov_b32_e32 v11, s19
	;; [unrolled: 1-line block ×5, first 2 shown]
	v_pk_mov_b32 v[6:7], v[0:1], v[0:1] op_sel:[0,1]
.LBB33_39:                              ; =>This Inner Loop Header: Depth=1
	v_mov_b32_e32 v4, v6
	v_lshlrev_b64 v[14:15], 3, v[4:5]
	v_add_co_u32_e32 v16, vcc, s14, v14
	v_addc_co_u32_e32 v17, vcc, v10, v15, vcc
	v_mov_b32_e32 v4, v7
	v_add_co_u32_e32 v20, vcc, s18, v14
	v_lshlrev_b64 v[18:19], 3, v[4:5]
	v_addc_co_u32_e32 v21, vcc, v11, v15, vcc
	v_add_co_u32_e32 v22, vcc, s14, v18
	v_addc_co_u32_e32 v23, vcc, v10, v19, vcc
	v_add_co_u32_e32 v24, vcc, s18, v18
	v_addc_co_u32_e32 v25, vcc, v11, v19, vcc
	global_load_dwordx2 v[26:27], v[16:17], off
	global_load_dwordx2 v[28:29], v[20:21], off
	;; [unrolled: 1-line block ×4, first 2 shown]
	v_add_u32_e32 v13, -2, v13
	v_cmp_eq_u32_e32 vcc, 0, v13
	s_or_b64 s[22:23], vcc, s[22:23]
	v_add_co_u32_e32 v16, vcc, s26, v18
	v_addc_co_u32_e32 v17, vcc, v12, v19, vcc
	v_add_co_u32_e64 v14, s[0:1], s26, v14
	v_add_u32_e32 v6, 2, v6
	v_add_u32_e32 v7, 2, v7
	v_addc_co_u32_e64 v15, s[0:1], v12, v15, s[0:1]
	s_waitcnt vmcnt(3)
	v_mov_b32_e32 v18, v26
	s_waitcnt vmcnt(2)
	v_mov_b32_e32 v20, v28
	;; [unrolled: 2-line block ×3, first 2 shown]
	v_mov_b32_e32 v30, v27
	s_waitcnt vmcnt(0)
	v_mov_b32_e32 v21, v32
	v_mov_b32_e32 v32, v29
	v_pk_mul_f32 v[18:19], v[18:19], v[2:3]
	v_pk_mul_f32 v[22:23], v[30:31], v[2:3]
	;; [unrolled: 1-line block ×4, first 2 shown]
	v_mov_b32_e32 v22, v18
	v_mov_b32_e32 v23, v20
	;; [unrolled: 1-line block ×3, first 2 shown]
	global_store_dwordx2 v[14:15], v[22:23], off
	global_store_dwordx2 v[16:17], v[20:21], off
	s_andn2_b64 exec, exec, s[22:23]
	s_cbranch_execnz .LBB33_39
; %bb.40:
	s_or_b64 exec, exec, s[22:23]
	v_cmp_ne_u32_e32 vcc, v8, v9
	s_andn2_b64 s[0:1], s[6:7], exec
	s_and_b64 s[6:7], vcc, exec
	v_add_u32_e32 v0, v0, v9
	s_or_b64 s[6:7], s[0:1], s[6:7]
	s_or_b64 exec, exec, s[20:21]
	s_and_b64 exec, exec, s[6:7]
	s_cbranch_execz .LBB33_43
.LBB33_41:
	s_add_u32 s0, s8, s12
	s_addc_u32 s1, s9, s13
	s_add_u32 s0, s0, s10
	s_addc_u32 s1, s1, s11
	v_mov_b32_e32 v1, 0
	s_add_u32 s0, s2, s0
	v_lshlrev_b64 v[8:9], 3, v[0:1]
	s_addc_u32 s1, s3, s1
	v_mov_b32_e32 v4, s1
	v_add_co_u32_e32 v1, vcc, s0, v8
	v_addc_co_u32_e32 v4, vcc, v4, v9, vcc
	s_lshl_b32 s6, s24, 3
	s_lshl_b64 s[0:1], s[4:5], 2
	s_waitcnt lgkmcnt(0)
	v_mov_b32_e32 v6, s19
	v_add_co_u32_e32 v5, vcc, s18, v8
	s_add_u32 s0, s16, s0
	v_addc_co_u32_e32 v6, vcc, v6, v9, vcc
	s_addc_u32 s1, s17, s1
	v_mov_b32_e32 v10, s1
	v_add_co_u32_e32 v7, vcc, s0, v8
	v_mov_b32_e32 v3, v2
	v_addc_co_u32_e32 v8, vcc, v10, v9, vcc
	s_mov_b64 s[2:3], 0
	s_mov_b64 s[4:5], 0
.LBB33_42:                              ; =>This Inner Loop Header: Depth=1
	v_mov_b32_e32 v9, s5
	v_add_co_u32_e64 v12, s[0:1], s4, v1
	v_add_co_u32_e32 v10, vcc, s4, v5
	v_addc_co_u32_e64 v13, s[0:1], v4, v9, s[0:1]
	v_addc_co_u32_e32 v11, vcc, v6, v9, vcc
	global_load_dwordx2 v[14:15], v[12:13], off
	global_load_dwordx2 v[16:17], v[10:11], off
	v_add_co_u32_e32 v10, vcc, s4, v7
	v_add_u32_e32 v0, s24, v0
	s_add_u32 s4, s4, s6
	v_addc_co_u32_e32 v11, vcc, v8, v9, vcc
	s_addc_u32 s5, s5, 0
	v_cmp_le_i32_e32 vcc, s25, v0
	s_or_b64 s[2:3], vcc, s[2:3]
	s_waitcnt vmcnt(1)
	v_pk_mul_f32 v[12:13], v[14:15], v[2:3]
	s_waitcnt vmcnt(0)
	v_pk_mul_f32 v[12:13], v[12:13], v[16:17]
	global_store_dwordx2 v[10:11], v[12:13], off
	s_andn2_b64 exec, exec, s[2:3]
	s_cbranch_execnz .LBB33_42
.LBB33_43:
	s_endpgm
	.section	.rodata,"a",@progbits
	.p2align	6, 0x0
	.amdhsa_kernel _ZN4vllm15rms_norm_kernelIfLi2ELi4EEEvPT_PKS1_lllllS4_fii
		.amdhsa_group_segment_fixed_size 68
		.amdhsa_private_segment_fixed_size 0
		.amdhsa_kernarg_size 336
		.amdhsa_user_sgpr_count 6
		.amdhsa_user_sgpr_private_segment_buffer 1
		.amdhsa_user_sgpr_dispatch_ptr 0
		.amdhsa_user_sgpr_queue_ptr 0
		.amdhsa_user_sgpr_kernarg_segment_ptr 1
		.amdhsa_user_sgpr_dispatch_id 0
		.amdhsa_user_sgpr_flat_scratch_init 0
		.amdhsa_user_sgpr_kernarg_preload_length 0
		.amdhsa_user_sgpr_kernarg_preload_offset 0
		.amdhsa_user_sgpr_private_segment_size 0
		.amdhsa_uses_dynamic_stack 0
		.amdhsa_system_sgpr_private_segment_wavefront_offset 0
		.amdhsa_system_sgpr_workgroup_id_x 1
		.amdhsa_system_sgpr_workgroup_id_y 0
		.amdhsa_system_sgpr_workgroup_id_z 0
		.amdhsa_system_sgpr_workgroup_info 0
		.amdhsa_system_vgpr_workitem_id 0
		.amdhsa_next_free_vgpr 34
		.amdhsa_next_free_sgpr 35
		.amdhsa_accum_offset 36
		.amdhsa_reserve_vcc 1
		.amdhsa_reserve_flat_scratch 0
		.amdhsa_float_round_mode_32 0
		.amdhsa_float_round_mode_16_64 0
		.amdhsa_float_denorm_mode_32 3
		.amdhsa_float_denorm_mode_16_64 3
		.amdhsa_dx10_clamp 1
		.amdhsa_ieee_mode 1
		.amdhsa_fp16_overflow 0
		.amdhsa_tg_split 0
		.amdhsa_exception_fp_ieee_invalid_op 0
		.amdhsa_exception_fp_denorm_src 0
		.amdhsa_exception_fp_ieee_div_zero 0
		.amdhsa_exception_fp_ieee_overflow 0
		.amdhsa_exception_fp_ieee_underflow 0
		.amdhsa_exception_fp_ieee_inexact 0
		.amdhsa_exception_int_div_zero 0
	.end_amdhsa_kernel
	.section	.text._ZN4vllm15rms_norm_kernelIfLi2ELi4EEEvPT_PKS1_lllllS4_fii,"axG",@progbits,_ZN4vllm15rms_norm_kernelIfLi2ELi4EEEvPT_PKS1_lllllS4_fii,comdat
.Lfunc_end33:
	.size	_ZN4vllm15rms_norm_kernelIfLi2ELi4EEEvPT_PKS1_lllllS4_fii, .Lfunc_end33-_ZN4vllm15rms_norm_kernelIfLi2ELi4EEEvPT_PKS1_lllllS4_fii
                                        ; -- End function
	.section	.AMDGPU.csdata,"",@progbits
; Kernel info:
; codeLenInByte = 3784
; NumSgprs: 39
; NumVgprs: 34
; NumAgprs: 0
; TotalNumVgprs: 34
; ScratchSize: 0
; MemoryBound: 0
; FloatMode: 240
; IeeeMode: 1
; LDSByteSize: 68 bytes/workgroup (compile time only)
; SGPRBlocks: 4
; VGPRBlocks: 4
; NumSGPRsForWavesPerEU: 39
; NumVGPRsForWavesPerEU: 34
; AccumOffset: 36
; Occupancy: 8
; WaveLimiterHint : 0
; COMPUTE_PGM_RSRC2:SCRATCH_EN: 0
; COMPUTE_PGM_RSRC2:USER_SGPR: 6
; COMPUTE_PGM_RSRC2:TRAP_HANDLER: 0
; COMPUTE_PGM_RSRC2:TGID_X_EN: 1
; COMPUTE_PGM_RSRC2:TGID_Y_EN: 0
; COMPUTE_PGM_RSRC2:TGID_Z_EN: 0
; COMPUTE_PGM_RSRC2:TIDIG_COMP_CNT: 0
; COMPUTE_PGM_RSRC3_GFX90A:ACCUM_OFFSET: 8
; COMPUTE_PGM_RSRC3_GFX90A:TG_SPLIT: 0
	.section	.text._ZN4vllm15rms_norm_kernelIfLi1ELi4EEEvPT_PKS1_lllllS4_fii,"axG",@progbits,_ZN4vllm15rms_norm_kernelIfLi1ELi4EEEvPT_PKS1_lllllS4_fii,comdat
	.protected	_ZN4vllm15rms_norm_kernelIfLi1ELi4EEEvPT_PKS1_lllllS4_fii ; -- Begin function _ZN4vllm15rms_norm_kernelIfLi1ELi4EEEvPT_PKS1_lllllS4_fii
	.globl	_ZN4vllm15rms_norm_kernelIfLi1ELi4EEEvPT_PKS1_lllllS4_fii
	.p2align	8
	.type	_ZN4vllm15rms_norm_kernelIfLi1ELi4EEEvPT_PKS1_lllllS4_fii,@function
_ZN4vllm15rms_norm_kernelIfLi1ELi4EEEvPT_PKS1_lllllS4_fii: ; @_ZN4vllm15rms_norm_kernelIfLi1ELi4EEEvPT_PKS1_lllllS4_fii
; %bb.0:
	s_load_dwordx8 s[8:15], s[4:5], 0x10
	s_load_dwordx2 s[2:3], s[4:5], 0x30
	s_mov_b32 s0, 0
	s_waitcnt lgkmcnt(0)
	s_mul_i32 s1, s2, s15
	s_mul_hi_u32 s7, s2, s14
	s_add_i32 s1, s7, s1
	s_mul_i32 s3, s3, s14
	s_add_i32 s1, s1, s3
	s_cmp_lg_u64 s[0:1], 0
	s_mul_i32 s7, s2, s14
	s_cbranch_scc0 .LBB34_12
; %bb.1:
	s_ashr_i32 s2, s1, 31
	s_add_u32 s0, s7, s2
	s_mov_b32 s3, s2
	s_addc_u32 s1, s1, s2
	s_xor_b64 s[16:17], s[0:1], s[2:3]
	v_cvt_f32_u32_e32 v1, s16
	v_cvt_f32_u32_e32 v2, s17
	s_sub_u32 s0, 0, s16
	s_subb_u32 s1, 0, s17
	v_madmk_f32 v1, v2, 0x4f800000, v1
	v_rcp_f32_e32 v1, v1
	v_mul_f32_e32 v1, 0x5f7ffffc, v1
	v_mul_f32_e32 v2, 0x2f800000, v1
	v_trunc_f32_e32 v2, v2
	v_madmk_f32 v1, v2, 0xcf800000, v1
	v_cvt_u32_f32_e32 v2, v2
	v_cvt_u32_f32_e32 v1, v1
	v_readfirstlane_b32 s20, v2
	v_readfirstlane_b32 s21, v1
	s_mul_i32 s22, s0, s20
	s_mul_hi_u32 s24, s0, s21
	s_mul_i32 s23, s1, s21
	s_add_i32 s22, s24, s22
	s_add_i32 s22, s22, s23
	s_mul_i32 s25, s0, s21
	s_mul_hi_u32 s23, s21, s22
	s_mul_i32 s24, s21, s22
	s_mul_hi_u32 s21, s21, s25
	s_add_u32 s21, s21, s24
	s_addc_u32 s23, 0, s23
	s_mul_hi_u32 s26, s20, s25
	s_mul_i32 s25, s20, s25
	s_add_u32 s21, s21, s25
	s_mul_hi_u32 s24, s20, s22
	s_addc_u32 s21, s23, s26
	s_addc_u32 s23, s24, 0
	s_mul_i32 s22, s20, s22
	s_add_u32 s21, s21, s22
	s_addc_u32 s22, 0, s23
	v_add_co_u32_e32 v1, vcc, s21, v1
	s_cmp_lg_u64 vcc, 0
	s_addc_u32 s20, s20, s22
	v_readfirstlane_b32 s22, v1
	s_mul_i32 s21, s0, s20
	s_mul_hi_u32 s23, s0, s22
	s_add_i32 s21, s23, s21
	s_mul_i32 s1, s1, s22
	s_add_i32 s21, s21, s1
	s_mul_i32 s0, s0, s22
	s_mul_hi_u32 s23, s20, s0
	s_mul_i32 s24, s20, s0
	s_mul_i32 s26, s22, s21
	s_mul_hi_u32 s0, s22, s0
	s_mul_hi_u32 s25, s22, s21
	s_add_u32 s0, s0, s26
	s_addc_u32 s22, 0, s25
	s_add_u32 s0, s0, s24
	s_mul_hi_u32 s1, s20, s21
	s_addc_u32 s0, s22, s23
	s_addc_u32 s1, s1, 0
	s_mul_i32 s21, s20, s21
	s_add_u32 s0, s0, s21
	s_addc_u32 s1, 0, s1
	v_add_co_u32_e32 v1, vcc, s0, v1
	s_cmp_lg_u64 vcc, 0
	s_addc_u32 s0, s20, s1
	v_readfirstlane_b32 s20, v1
	s_mul_hi_u32 s1, s6, s0
	s_mul_i32 s0, s6, s0
	s_mul_hi_u32 s20, s6, s20
	s_add_u32 s0, s20, s0
	s_addc_u32 s1, 0, s1
	s_add_u32 s0, s0, 0
	s_addc_u32 s0, s1, 0
	s_addc_u32 s1, 0, 0
	s_add_u32 s20, s0, 0
	s_addc_u32 s21, 0, s1
	s_mul_i32 s0, s16, s21
	s_mul_hi_u32 s1, s16, s20
	s_add_i32 s0, s1, s0
	s_mul_i32 s1, s17, s20
	s_add_i32 s22, s0, s1
	s_mul_i32 s1, s16, s20
	v_mov_b32_e32 v1, s1
	s_sub_i32 s0, 0, s22
	v_sub_co_u32_e32 v1, vcc, s6, v1
	s_cmp_lg_u64 vcc, 0
	s_subb_u32 s23, s0, s17
	v_subrev_co_u32_e64 v2, s[0:1], s16, v1
	s_cmp_lg_u64 s[0:1], 0
	s_subb_u32 s0, s23, 0
	s_cmp_ge_u32 s0, s17
	v_readfirstlane_b32 s23, v2
	s_cselect_b32 s1, -1, 0
	s_cmp_ge_u32 s23, s16
	s_cselect_b32 s23, -1, 0
	s_cmp_eq_u32 s0, s17
	s_cselect_b32 s0, s23, s1
	s_add_u32 s1, s20, 1
	s_addc_u32 s23, s21, 0
	s_add_u32 s24, s20, 2
	s_addc_u32 s25, s21, 0
	s_cmp_lg_u32 s0, 0
	s_cselect_b32 s0, s24, s1
	s_cselect_b32 s1, s25, s23
	s_cmp_lg_u64 vcc, 0
	s_subb_u32 s22, 0, s22
	s_cmp_ge_u32 s22, s17
	v_readfirstlane_b32 s24, v1
	s_cselect_b32 s23, -1, 0
	s_cmp_ge_u32 s24, s16
	s_cselect_b32 s16, -1, 0
	s_cmp_eq_u32 s22, s17
	s_cselect_b32 s16, s16, s23
	s_cmp_lg_u32 s16, 0
	s_cselect_b32 s1, s1, s21
	s_cselect_b32 s0, s0, s20
	s_xor_b64 s[0:1], s[0:1], s[2:3]
	s_sub_u32 s16, s0, s2
	s_subb_u32 s17, s1, s2
	s_cbranch_execnz .LBB34_3
.LBB34_2:
	v_cvt_f32_u32_e32 v1, s7
	s_sub_i32 s0, 0, s7
	s_mov_b32 s17, 0
	v_rcp_iflag_f32_e32 v1, v1
	v_mul_f32_e32 v1, 0x4f7ffffe, v1
	v_cvt_u32_f32_e32 v1, v1
	v_readfirstlane_b32 s1, v1
	s_mul_i32 s0, s0, s1
	s_mul_hi_u32 s0, s1, s0
	s_add_i32 s1, s1, s0
	s_mul_hi_u32 s0, s6, s1
	s_mul_i32 s2, s0, s7
	s_sub_i32 s2, s6, s2
	s_add_i32 s1, s0, 1
	s_sub_i32 s3, s2, s7
	s_cmp_ge_u32 s2, s7
	s_cselect_b32 s0, s1, s0
	s_cselect_b32 s2, s3, s2
	s_add_i32 s1, s0, 1
	s_cmp_ge_u32 s2, s7
	s_cselect_b32 s16, s1, s0
.LBB34_3:
	s_mul_i32 s0, s16, s7
	s_load_dwordx2 s[2:3], s[4:5], 0x8
	s_sub_i32 s18, s6, s0
	s_ashr_i32 s19, s18, 31
	s_or_b64 s[0:1], s[18:19], s[14:15]
	s_mov_b32 s0, 0
	s_cmp_lg_u64 s[0:1], 0
	s_cbranch_scc0 .LBB34_13
; %bb.4:
	s_ashr_i32 s20, s15, 31
	s_add_u32 s0, s14, s20
	s_mov_b32 s21, s20
	s_addc_u32 s1, s15, s20
	s_xor_b64 s[24:25], s[0:1], s[20:21]
	v_cvt_f32_u32_e32 v1, s24
	v_cvt_f32_u32_e32 v2, s25
	s_sub_u32 s0, 0, s24
	s_subb_u32 s1, 0, s25
	v_madmk_f32 v1, v2, 0x4f800000, v1
	v_rcp_f32_e32 v1, v1
	v_mul_f32_e32 v1, 0x5f7ffffc, v1
	v_mul_f32_e32 v2, 0x2f800000, v1
	v_trunc_f32_e32 v2, v2
	v_madmk_f32 v1, v2, 0xcf800000, v1
	v_cvt_u32_f32_e32 v2, v2
	v_cvt_u32_f32_e32 v1, v1
	v_readfirstlane_b32 s7, v2
	v_readfirstlane_b32 s26, v1
	s_mul_i32 s27, s0, s7
	s_mul_hi_u32 s29, s0, s26
	s_mul_i32 s28, s1, s26
	s_add_i32 s27, s29, s27
	s_add_i32 s27, s27, s28
	s_mul_i32 s30, s0, s26
	s_mul_hi_u32 s28, s26, s27
	s_mul_i32 s29, s26, s27
	s_mul_hi_u32 s26, s26, s30
	s_add_u32 s26, s26, s29
	s_addc_u32 s28, 0, s28
	s_mul_hi_u32 s31, s7, s30
	s_mul_i32 s30, s7, s30
	s_add_u32 s26, s26, s30
	s_mul_hi_u32 s29, s7, s27
	s_addc_u32 s26, s28, s31
	s_addc_u32 s28, s29, 0
	s_mul_i32 s27, s7, s27
	s_add_u32 s26, s26, s27
	s_addc_u32 s27, 0, s28
	v_add_co_u32_e32 v1, vcc, s26, v1
	s_cmp_lg_u64 vcc, 0
	s_addc_u32 s7, s7, s27
	v_readfirstlane_b32 s27, v1
	s_mul_i32 s26, s0, s7
	s_mul_hi_u32 s28, s0, s27
	s_add_i32 s26, s28, s26
	s_mul_i32 s1, s1, s27
	s_add_i32 s26, s26, s1
	s_mul_i32 s0, s0, s27
	s_mul_hi_u32 s28, s7, s0
	s_mul_i32 s29, s7, s0
	s_mul_i32 s31, s27, s26
	s_mul_hi_u32 s0, s27, s0
	s_mul_hi_u32 s30, s27, s26
	s_add_u32 s0, s0, s31
	s_addc_u32 s27, 0, s30
	s_add_u32 s0, s0, s29
	s_mul_hi_u32 s1, s7, s26
	s_addc_u32 s0, s27, s28
	s_addc_u32 s1, s1, 0
	s_mul_i32 s26, s7, s26
	s_add_u32 s0, s0, s26
	s_addc_u32 s1, 0, s1
	v_add_co_u32_e32 v1, vcc, s0, v1
	s_cmp_lg_u64 vcc, 0
	s_addc_u32 s7, s7, s1
	s_add_u32 s0, s18, s19
	s_mov_b32 s26, s19
	s_mov_b32 s27, s19
	s_addc_u32 s1, s19, s19
	s_xor_b64 s[28:29], s[0:1], s[26:27]
	v_readfirstlane_b32 s30, v1
	s_mul_i32 s1, s28, s7
	s_mul_hi_u32 s31, s28, s30
	s_mul_hi_u32 s0, s28, s7
	s_add_u32 s1, s31, s1
	s_addc_u32 s0, 0, s0
	s_mul_hi_u32 s33, s29, s30
	s_mul_i32 s30, s29, s30
	s_add_u32 s1, s1, s30
	s_mul_hi_u32 s31, s29, s7
	s_addc_u32 s0, s0, s33
	s_addc_u32 s1, s31, 0
	s_mul_i32 s7, s29, s7
	s_add_u32 s7, s0, s7
	s_addc_u32 s30, 0, s1
	s_mul_i32 s0, s24, s30
	s_mul_hi_u32 s1, s24, s7
	s_add_i32 s0, s1, s0
	s_mul_i32 s1, s25, s7
	s_add_i32 s31, s0, s1
	s_mul_i32 s1, s24, s7
	v_mov_b32_e32 v1, s1
	s_sub_i32 s0, s29, s31
	v_sub_co_u32_e32 v1, vcc, s28, v1
	s_cmp_lg_u64 vcc, 0
	s_subb_u32 s28, s0, s25
	v_subrev_co_u32_e64 v2, s[0:1], s24, v1
	s_cmp_lg_u64 s[0:1], 0
	s_subb_u32 s0, s28, 0
	s_cmp_ge_u32 s0, s25
	v_readfirstlane_b32 s28, v2
	s_cselect_b32 s1, -1, 0
	s_cmp_ge_u32 s28, s24
	s_cselect_b32 s28, -1, 0
	s_cmp_eq_u32 s0, s25
	s_cselect_b32 s0, s28, s1
	s_add_u32 s1, s7, 1
	s_addc_u32 s28, s30, 0
	s_add_u32 s33, s7, 2
	s_addc_u32 s34, s30, 0
	s_cmp_lg_u32 s0, 0
	s_cselect_b32 s0, s33, s1
	s_cselect_b32 s1, s34, s28
	s_cmp_lg_u64 vcc, 0
	s_subb_u32 s28, s29, s31
	s_cmp_ge_u32 s28, s25
	v_readfirstlane_b32 s31, v1
	s_cselect_b32 s29, -1, 0
	s_cmp_ge_u32 s31, s24
	s_cselect_b32 s24, -1, 0
	s_cmp_eq_u32 s28, s25
	s_cselect_b32 s24, s24, s29
	s_cmp_lg_u32 s24, 0
	s_cselect_b32 s1, s1, s30
	s_cselect_b32 s0, s0, s7
	s_xor_b64 s[20:21], s[26:27], s[20:21]
	s_xor_b64 s[0:1], s[0:1], s[20:21]
	s_sub_u32 s0, s0, s20
	s_subb_u32 s1, s1, s21
	s_cbranch_execnz .LBB34_6
.LBB34_5:
	v_cvt_f32_u32_e32 v1, s14
	s_sub_i32 s0, 0, s14
	s_mov_b32 s1, 0
	v_rcp_iflag_f32_e32 v1, v1
	v_mul_f32_e32 v1, 0x4f7ffffe, v1
	v_cvt_u32_f32_e32 v1, v1
	v_readfirstlane_b32 s7, v1
	s_mul_i32 s0, s0, s7
	s_mul_hi_u32 s0, s7, s0
	s_add_i32 s7, s7, s0
	s_mul_hi_u32 s0, s18, s7
	s_mul_i32 s20, s0, s14
	s_sub_i32 s20, s18, s20
	s_add_i32 s7, s0, 1
	s_sub_i32 s21, s20, s14
	s_cmp_ge_u32 s20, s14
	s_cselect_b32 s0, s7, s0
	s_cselect_b32 s20, s21, s20
	s_add_i32 s7, s0, 1
	s_cmp_ge_u32 s20, s14
	s_cselect_b32 s0, s7, s0
.LBB34_6:
	s_mul_i32 s7, s0, s15
	s_mul_hi_u32 s15, s0, s14
	s_add_i32 s7, s15, s7
	s_mul_i32 s15, s1, s14
	s_add_i32 s7, s7, s15
	s_mul_i32 s14, s0, s14
	s_sub_u32 s18, s18, s14
	s_subb_u32 s7, s19, s7
	s_bfe_i64 s[14:15], s[16:17], 0x200000
	s_mul_i32 s13, s16, s13
	s_mul_hi_u32 s14, s16, s12
	s_add_i32 s13, s14, s13
	s_mul_i32 s14, s15, s12
	s_add_i32 s13, s13, s14
	s_mul_i32 s12, s16, s12
	s_lshl_b64 s[12:13], s[12:13], 2
	s_waitcnt lgkmcnt(0)
	s_add_u32 s16, s2, s12
	s_addc_u32 s17, s3, s13
	s_bfe_i64 s[14:15], s[0:1], 0x200000
	s_mul_i32 s1, s0, s11
	s_mul_hi_u32 s11, s0, s10
	s_add_i32 s1, s11, s1
	s_mul_i32 s11, s15, s10
	s_add_i32 s1, s1, s11
	s_mul_i32 s0, s0, s10
	s_lshl_b64 s[10:11], s[0:1], 2
	s_add_u32 s14, s16, s10
	s_mul_i32 s0, s18, s9
	s_mul_hi_u32 s1, s18, s8
	s_addc_u32 s15, s17, s11
	s_add_i32 s0, s1, s0
	s_mul_i32 s7, s7, s8
	s_add_i32 s1, s0, s7
	s_load_dword s7, s[4:5], 0x48
	s_load_dword s17, s[4:5], 0x5c
	s_mul_i32 s0, s18, s8
	s_lshl_b64 s[8:9], s[0:1], 2
	s_add_u32 s16, s14, s8
	s_addc_u32 s18, s15, s9
	s_waitcnt lgkmcnt(0)
	s_and_b32 s17, s17, 0xffff
	s_and_b32 s0, s16, 3
	s_mov_b32 s1, 0
	s_cmp_lg_u64 s[0:1], 0
	s_cbranch_scc0 .LBB34_14
; %bb.7:
	s_min_i32 s14, s7, 0
	s_sub_i32 s19, s7, s14
	v_cmp_gt_i32_e32 vcc, s19, v0
	v_mov_b32_e32 v4, 0
	s_and_saveexec_b64 s[0:1], vcc
	s_cbranch_execz .LBB34_11
; %bb.8:
	s_ashr_i32 s15, s14, 31
	s_add_u32 s20, s8, s12
	s_addc_u32 s21, s9, s13
	s_add_u32 s20, s20, s10
	s_addc_u32 s21, s21, s11
	s_lshl_b64 s[14:15], s[14:15], 2
	s_add_u32 s14, s20, s14
	s_addc_u32 s15, s21, s15
	s_add_u32 s14, s2, s14
	v_lshlrev_b32_e32 v1, 2, v0
	s_addc_u32 s15, s3, s15
	s_mov_b32 s21, 0
	v_mov_b32_e32 v3, s15
	v_add_co_u32_e32 v2, vcc, s14, v1
	v_addc_co_u32_e32 v3, vcc, 0, v3, vcc
	s_lshl_b32 s20, s17, 2
	s_mov_b64 s[14:15], 0
	v_mov_b32_e32 v4, 0
	v_mov_b32_e32 v1, s21
	;; [unrolled: 1-line block ×3, first 2 shown]
.LBB34_9:                               ; =>This Inner Loop Header: Depth=1
	global_load_dword v6, v[2:3], off
	v_add_co_u32_e32 v2, vcc, s20, v2
	v_add_u32_e32 v5, s17, v5
	v_addc_co_u32_e32 v3, vcc, v3, v1, vcc
	v_cmp_le_i32_e32 vcc, s19, v5
	s_or_b64 s[14:15], vcc, s[14:15]
	s_waitcnt vmcnt(0)
	v_fmac_f32_e32 v4, v6, v6
	s_andn2_b64 exec, exec, s[14:15]
	s_cbranch_execnz .LBB34_9
; %bb.10:
	s_or_b64 exec, exec, s[14:15]
.LBB34_11:
	s_or_b64 exec, exec, s[0:1]
	v_cmp_gt_i32_e64 s[0:1], s7, v0
	s_cbranch_execz .LBB34_15
	s_branch .LBB34_20
.LBB34_12:
                                        ; implicit-def: $sgpr16_sgpr17
	s_branch .LBB34_2
.LBB34_13:
                                        ; implicit-def: $sgpr0_sgpr1
	s_branch .LBB34_5
.LBB34_14:
                                        ; implicit-def: $vgpr4
	v_cmp_gt_i32_e64 s[0:1], s7, v0
.LBB34_15:
	v_mov_b32_e32 v4, 0
	s_and_saveexec_b64 s[14:15], s[0:1]
	s_cbranch_execz .LBB34_19
; %bb.16:
	s_add_u32 s0, s8, s12
	s_addc_u32 s1, s9, s13
	s_add_u32 s0, s0, s10
	s_addc_u32 s1, s1, s11
	s_add_u32 s0, s2, s0
	v_lshlrev_b32_e32 v1, 2, v0
	s_addc_u32 s1, s3, s1
	s_mov_b32 s8, 0
	v_mov_b32_e32 v3, s1
	v_add_co_u32_e32 v2, vcc, s0, v1
	v_addc_co_u32_e32 v3, vcc, 0, v3, vcc
	s_lshl_b32 s2, s17, 2
	s_mov_b64 s[0:1], 0
	v_mov_b32_e32 v4, 0
	v_mov_b32_e32 v1, s8
	;; [unrolled: 1-line block ×3, first 2 shown]
.LBB34_17:                              ; =>This Inner Loop Header: Depth=1
	global_load_dword v6, v[2:3], off
	v_add_co_u32_e32 v2, vcc, s2, v2
	v_add_u32_e32 v5, s17, v5
	v_addc_co_u32_e32 v3, vcc, v3, v1, vcc
	v_cmp_le_i32_e32 vcc, s7, v5
	s_or_b64 s[0:1], vcc, s[0:1]
	s_waitcnt vmcnt(0)
	v_fmac_f32_e32 v4, v6, v6
	s_andn2_b64 exec, exec, s[0:1]
	s_cbranch_execnz .LBB34_17
; %bb.18:
	s_or_b64 exec, exec, s[0:1]
.LBB34_19:
	s_or_b64 exec, exec, s[14:15]
.LBB34_20:
	v_mbcnt_lo_u32_b32 v1, -1, 0
	v_mbcnt_hi_u32_b32 v1, -1, v1
	v_and_b32_e32 v2, 63, v1
	v_cmp_ne_u32_e32 vcc, 63, v2
	v_addc_co_u32_e32 v3, vcc, 0, v1, vcc
	v_lshlrev_b32_e32 v3, 2, v3
	ds_bpermute_b32 v3, v3, v4
	v_and_b32_e32 v5, 0x3c0, v0
	v_sub_u32_e64 v5, s17, v5 clamp
	v_add_u32_e32 v6, 1, v1
	v_cmp_lt_u32_e32 vcc, v6, v5
	s_waitcnt lgkmcnt(0)
	v_add_f32_e32 v3, v4, v3
	v_cndmask_b32_e32 v3, v4, v3, vcc
	v_cmp_gt_u32_e32 vcc, 62, v2
	v_cndmask_b32_e64 v4, 0, 1, vcc
	v_lshlrev_b32_e32 v4, 1, v4
	v_add_lshl_u32 v4, v4, v1, 2
	ds_bpermute_b32 v4, v4, v3
	v_add_u32_e32 v6, 2, v1
	v_cmp_lt_u32_e32 vcc, v6, v5
	v_add_u32_e32 v6, 4, v1
	s_waitcnt lgkmcnt(0)
	v_add_f32_e32 v4, v3, v4
	v_cndmask_b32_e32 v3, v3, v4, vcc
	v_cmp_gt_u32_e32 vcc, 60, v2
	v_cndmask_b32_e64 v4, 0, 1, vcc
	v_lshlrev_b32_e32 v4, 2, v4
	v_add_lshl_u32 v4, v4, v1, 2
	ds_bpermute_b32 v4, v4, v3
	v_cmp_lt_u32_e32 vcc, v6, v5
	v_add_u32_e32 v6, 8, v1
	s_waitcnt lgkmcnt(0)
	v_add_f32_e32 v4, v3, v4
	v_cndmask_b32_e32 v3, v3, v4, vcc
	v_cmp_gt_u32_e32 vcc, 56, v2
	v_cndmask_b32_e64 v4, 0, 1, vcc
	v_lshlrev_b32_e32 v4, 3, v4
	v_add_lshl_u32 v4, v4, v1, 2
	ds_bpermute_b32 v4, v4, v3
	;; [unrolled: 10-line block ×3, first 2 shown]
	v_cmp_lt_u32_e32 vcc, v6, v5
	s_waitcnt lgkmcnt(0)
	v_add_f32_e32 v4, v3, v4
	v_cndmask_b32_e32 v3, v3, v4, vcc
	v_cmp_gt_u32_e32 vcc, 32, v2
	v_cndmask_b32_e64 v2, 0, 1, vcc
	v_lshlrev_b32_e32 v2, 5, v2
	v_add_lshl_u32 v2, v2, v1, 2
	ds_bpermute_b32 v2, v2, v3
	v_add_u32_e32 v4, 32, v1
	v_cmp_lt_u32_e32 vcc, v4, v5
	s_waitcnt lgkmcnt(0)
	v_add_f32_e32 v2, v3, v2
	v_cndmask_b32_e32 v2, v3, v2, vcc
	v_cmp_eq_u32_e32 vcc, 0, v1
	s_and_saveexec_b64 s[0:1], vcc
	s_cbranch_execz .LBB34_22
; %bb.21:
	v_lshrrev_b32_e32 v3, 4, v0
	v_and_b32_e32 v3, 60, v3
	ds_write_b32 v3, v2
.LBB34_22:
	s_or_b64 exec, exec, s[0:1]
	v_cmp_gt_u32_e32 vcc, 16, v0
	s_waitcnt lgkmcnt(0)
	s_barrier
	s_and_saveexec_b64 s[2:3], vcc
	s_cbranch_execz .LBB34_24
; %bb.23:
	v_lshlrev_b32_e32 v2, 2, v1
	ds_read_b32 v2, v2
	v_and_b32_e32 v3, 15, v1
	v_cmp_ne_u32_e32 vcc, 15, v3
	v_addc_co_u32_e32 v4, vcc, 0, v1, vcc
	v_lshlrev_b32_e32 v4, 2, v4
	s_waitcnt lgkmcnt(0)
	ds_bpermute_b32 v4, v4, v2
	s_add_i32 s0, s17, 63
	s_lshr_b32 s8, s0, 6
	v_add_u32_e32 v5, 1, v3
	v_cmp_gt_u32_e64 s[0:1], 14, v3
	v_cmp_gt_u32_e32 vcc, s8, v5
	v_cndmask_b32_e64 v5, 0, 1, s[0:1]
	s_waitcnt lgkmcnt(0)
	v_add_f32_e32 v4, v2, v4
	v_lshlrev_b32_e32 v5, 1, v5
	v_cndmask_b32_e32 v4, v2, v4, vcc
	v_add_lshl_u32 v5, v5, v1, 2
	ds_bpermute_b32 v5, v5, v4
	v_add_u32_e32 v6, 2, v3
	v_cmp_gt_u32_e64 s[0:1], s8, v6
	v_add_u32_e32 v6, 4, v3
	s_waitcnt lgkmcnt(0)
	v_add_f32_e32 v5, v4, v5
	v_cndmask_b32_e64 v4, v4, v5, s[0:1]
	v_cmp_gt_u32_e64 s[0:1], 12, v3
	v_cndmask_b32_e64 v5, 0, 1, s[0:1]
	v_lshlrev_b32_e32 v5, 2, v5
	v_add_lshl_u32 v5, v5, v1, 2
	ds_bpermute_b32 v5, v5, v4
	v_cmp_gt_u32_e64 s[0:1], s8, v6
	s_waitcnt lgkmcnt(0)
	v_add_f32_e32 v5, v4, v5
	v_cndmask_b32_e64 v4, v4, v5, s[0:1]
	v_cmp_gt_u32_e64 s[0:1], 8, v3
	v_cndmask_b32_e64 v5, 0, 1, s[0:1]
	v_lshlrev_b32_e32 v5, 3, v5
	v_add_lshl_u32 v1, v5, v1, 2
	ds_bpermute_b32 v1, v1, v4
	v_add_u32_e32 v3, 8, v3
	v_cmp_gt_u32_e64 s[0:1], s8, v3
	s_waitcnt lgkmcnt(0)
	v_add_f32_e32 v1, v4, v1
	v_cndmask_b32_e64 v1, v4, v1, s[0:1]
	v_cndmask_b32_e32 v2, v2, v1, vcc
.LBB34_24:
	s_or_b64 exec, exec, s[2:3]
	v_cmp_eq_u32_e32 vcc, 0, v0
	s_and_saveexec_b64 s[0:1], vcc
	s_cbranch_execz .LBB34_26
; %bb.25:
	v_cvt_f32_i32_e32 v1, s7
	s_load_dword s8, s[4:5], 0x40
	v_div_scale_f32 v3, s[2:3], v1, v1, v2
	v_rcp_f32_e32 v4, v3
	v_div_scale_f32 v5, vcc, v2, v1, v2
	s_mov_b32 s2, 0x800000
	v_fma_f32 v6, -v3, v4, 1.0
	v_fmac_f32_e32 v4, v6, v4
	v_mul_f32_e32 v6, v5, v4
	v_fma_f32 v7, -v3, v6, v5
	v_fmac_f32_e32 v6, v7, v4
	v_fma_f32 v3, -v3, v6, v5
	v_div_fmas_f32 v3, v3, v4, v6
	v_div_fixup_f32 v1, v3, v1, v2
	s_waitcnt lgkmcnt(0)
	v_add_f32_e32 v1, s8, v1
	v_mul_f32_e32 v2, 0x4b800000, v1
	v_cmp_gt_f32_e32 vcc, s2, v1
	v_cndmask_b32_e32 v1, v1, v2, vcc
	v_rsq_f32_e32 v1, v1
	v_mul_f32_e32 v2, 0x45800000, v1
	v_cndmask_b32_e32 v1, v1, v2, vcc
	v_mov_b32_e32 v2, 0
	ds_write_b32 v2, v1 offset:64
.LBB34_26:
	s_or_b64 exec, exec, s[0:1]
	v_cmp_gt_i32_e32 vcc, s7, v0
	s_waitcnt lgkmcnt(0)
	s_barrier
	s_and_saveexec_b64 s[0:1], vcc
	s_cbranch_execz .LBB34_29
; %bb.27:
	s_load_dwordx2 s[2:3], s[4:5], 0x0
	s_load_dwordx2 s[0:1], s[4:5], 0x38
	v_mov_b32_e32 v1, 0
	s_mul_i32 s4, s6, s7
	s_mov_b32 s5, 0
	ds_read_b32 v2, v1 offset:64
	s_lshl_b64 s[4:5], s[4:5], 2
	s_waitcnt lgkmcnt(0)
	s_add_u32 s4, s2, s4
	s_addc_u32 s5, s3, s5
	s_mov_b64 s[2:3], 0
	v_mov_b32_e32 v3, s18
	v_mov_b32_e32 v4, s1
	;; [unrolled: 1-line block ×3, first 2 shown]
.LBB34_28:                              ; =>This Inner Loop Header: Depth=1
	v_ashrrev_i32_e32 v1, 31, v0
	v_lshlrev_b64 v[6:7], 2, v[0:1]
	v_add_co_u32_e32 v8, vcc, s16, v6
	v_addc_co_u32_e32 v9, vcc, v3, v7, vcc
	global_load_dword v1, v[8:9], off
	v_add_co_u32_e32 v8, vcc, s0, v6
	v_addc_co_u32_e32 v9, vcc, v4, v7, vcc
	global_load_dword v8, v[8:9], off
	v_add_co_u32_e32 v6, vcc, s4, v6
	v_add_u32_e32 v0, s17, v0
	v_addc_co_u32_e32 v7, vcc, v5, v7, vcc
	v_cmp_le_i32_e32 vcc, s7, v0
	s_or_b64 s[2:3], vcc, s[2:3]
	s_waitcnt vmcnt(1)
	v_mul_f32_e32 v1, v1, v2
	s_waitcnt vmcnt(0)
	v_mul_f32_e32 v1, v8, v1
	global_store_dword v[6:7], v1, off
	s_andn2_b64 exec, exec, s[2:3]
	s_cbranch_execnz .LBB34_28
.LBB34_29:
	s_endpgm
	.section	.rodata,"a",@progbits
	.p2align	6, 0x0
	.amdhsa_kernel _ZN4vllm15rms_norm_kernelIfLi1ELi4EEEvPT_PKS1_lllllS4_fii
		.amdhsa_group_segment_fixed_size 68
		.amdhsa_private_segment_fixed_size 0
		.amdhsa_kernarg_size 336
		.amdhsa_user_sgpr_count 6
		.amdhsa_user_sgpr_private_segment_buffer 1
		.amdhsa_user_sgpr_dispatch_ptr 0
		.amdhsa_user_sgpr_queue_ptr 0
		.amdhsa_user_sgpr_kernarg_segment_ptr 1
		.amdhsa_user_sgpr_dispatch_id 0
		.amdhsa_user_sgpr_flat_scratch_init 0
		.amdhsa_user_sgpr_kernarg_preload_length 0
		.amdhsa_user_sgpr_kernarg_preload_offset 0
		.amdhsa_user_sgpr_private_segment_size 0
		.amdhsa_uses_dynamic_stack 0
		.amdhsa_system_sgpr_private_segment_wavefront_offset 0
		.amdhsa_system_sgpr_workgroup_id_x 1
		.amdhsa_system_sgpr_workgroup_id_y 0
		.amdhsa_system_sgpr_workgroup_id_z 0
		.amdhsa_system_sgpr_workgroup_info 0
		.amdhsa_system_vgpr_workitem_id 0
		.amdhsa_next_free_vgpr 10
		.amdhsa_next_free_sgpr 35
		.amdhsa_accum_offset 12
		.amdhsa_reserve_vcc 1
		.amdhsa_reserve_flat_scratch 0
		.amdhsa_float_round_mode_32 0
		.amdhsa_float_round_mode_16_64 0
		.amdhsa_float_denorm_mode_32 3
		.amdhsa_float_denorm_mode_16_64 3
		.amdhsa_dx10_clamp 1
		.amdhsa_ieee_mode 1
		.amdhsa_fp16_overflow 0
		.amdhsa_tg_split 0
		.amdhsa_exception_fp_ieee_invalid_op 0
		.amdhsa_exception_fp_denorm_src 0
		.amdhsa_exception_fp_ieee_div_zero 0
		.amdhsa_exception_fp_ieee_overflow 0
		.amdhsa_exception_fp_ieee_underflow 0
		.amdhsa_exception_fp_ieee_inexact 0
		.amdhsa_exception_int_div_zero 0
	.end_amdhsa_kernel
	.section	.text._ZN4vllm15rms_norm_kernelIfLi1ELi4EEEvPT_PKS1_lllllS4_fii,"axG",@progbits,_ZN4vllm15rms_norm_kernelIfLi1ELi4EEEvPT_PKS1_lllllS4_fii,comdat
.Lfunc_end34:
	.size	_ZN4vllm15rms_norm_kernelIfLi1ELi4EEEvPT_PKS1_lllllS4_fii, .Lfunc_end34-_ZN4vllm15rms_norm_kernelIfLi1ELi4EEEvPT_PKS1_lllllS4_fii
                                        ; -- End function
	.section	.AMDGPU.csdata,"",@progbits
; Kernel info:
; codeLenInByte = 2856
; NumSgprs: 39
; NumVgprs: 10
; NumAgprs: 0
; TotalNumVgprs: 10
; ScratchSize: 0
; MemoryBound: 0
; FloatMode: 240
; IeeeMode: 1
; LDSByteSize: 68 bytes/workgroup (compile time only)
; SGPRBlocks: 4
; VGPRBlocks: 1
; NumSGPRsForWavesPerEU: 39
; NumVGPRsForWavesPerEU: 10
; AccumOffset: 12
; Occupancy: 8
; WaveLimiterHint : 0
; COMPUTE_PGM_RSRC2:SCRATCH_EN: 0
; COMPUTE_PGM_RSRC2:USER_SGPR: 6
; COMPUTE_PGM_RSRC2:TRAP_HANDLER: 0
; COMPUTE_PGM_RSRC2:TGID_X_EN: 1
; COMPUTE_PGM_RSRC2:TGID_Y_EN: 0
; COMPUTE_PGM_RSRC2:TGID_Z_EN: 0
; COMPUTE_PGM_RSRC2:TIDIG_COMP_CNT: 0
; COMPUTE_PGM_RSRC3_GFX90A:ACCUM_OFFSET: 2
; COMPUTE_PGM_RSRC3_GFX90A:TG_SPLIT: 0
	.section	.text._ZN4vllm15rms_norm_kernelIN3c104HalfELi16ELi4EEEvPT_PKS3_lllllS6_fii,"axG",@progbits,_ZN4vllm15rms_norm_kernelIN3c104HalfELi16ELi4EEEvPT_PKS3_lllllS6_fii,comdat
	.protected	_ZN4vllm15rms_norm_kernelIN3c104HalfELi16ELi4EEEvPT_PKS3_lllllS6_fii ; -- Begin function _ZN4vllm15rms_norm_kernelIN3c104HalfELi16ELi4EEEvPT_PKS3_lllllS6_fii
	.globl	_ZN4vllm15rms_norm_kernelIN3c104HalfELi16ELi4EEEvPT_PKS3_lllllS6_fii
	.p2align	8
	.type	_ZN4vllm15rms_norm_kernelIN3c104HalfELi16ELi4EEEvPT_PKS3_lllllS6_fii,@function
_ZN4vllm15rms_norm_kernelIN3c104HalfELi16ELi4EEEvPT_PKS3_lllllS6_fii: ; @_ZN4vllm15rms_norm_kernelIN3c104HalfELi16ELi4EEEvPT_PKS3_lllllS6_fii
; %bb.0:
	s_load_dwordx8 s[8:15], s[4:5], 0x10
	s_load_dwordx2 s[2:3], s[4:5], 0x30
	s_mov_b32 s0, 0
	s_waitcnt lgkmcnt(0)
	s_mul_i32 s1, s2, s15
	s_mul_hi_u32 s7, s2, s14
	s_add_i32 s1, s7, s1
	s_mul_i32 s3, s3, s14
	s_add_i32 s1, s1, s3
	s_cmp_lg_u64 s[0:1], 0
	s_mul_i32 s7, s2, s14
	s_cbranch_scc0 .LBB35_36
; %bb.1:
	s_ashr_i32 s2, s1, 31
	s_add_u32 s0, s7, s2
	s_mov_b32 s3, s2
	s_addc_u32 s1, s1, s2
	s_xor_b64 s[16:17], s[0:1], s[2:3]
	v_cvt_f32_u32_e32 v1, s16
	v_cvt_f32_u32_e32 v2, s17
	s_sub_u32 s0, 0, s16
	s_subb_u32 s1, 0, s17
	v_madmk_f32 v1, v2, 0x4f800000, v1
	v_rcp_f32_e32 v1, v1
	v_mul_f32_e32 v1, 0x5f7ffffc, v1
	v_mul_f32_e32 v2, 0x2f800000, v1
	v_trunc_f32_e32 v2, v2
	v_madmk_f32 v1, v2, 0xcf800000, v1
	v_cvt_u32_f32_e32 v2, v2
	v_cvt_u32_f32_e32 v1, v1
	v_readfirstlane_b32 s20, v2
	v_readfirstlane_b32 s21, v1
	s_mul_i32 s22, s0, s20
	s_mul_hi_u32 s24, s0, s21
	s_mul_i32 s23, s1, s21
	s_add_i32 s22, s24, s22
	s_add_i32 s22, s22, s23
	s_mul_i32 s25, s0, s21
	s_mul_hi_u32 s23, s21, s22
	s_mul_i32 s24, s21, s22
	s_mul_hi_u32 s21, s21, s25
	s_add_u32 s21, s21, s24
	s_addc_u32 s23, 0, s23
	s_mul_hi_u32 s26, s20, s25
	s_mul_i32 s25, s20, s25
	s_add_u32 s21, s21, s25
	s_mul_hi_u32 s24, s20, s22
	s_addc_u32 s21, s23, s26
	s_addc_u32 s23, s24, 0
	s_mul_i32 s22, s20, s22
	s_add_u32 s21, s21, s22
	s_addc_u32 s22, 0, s23
	v_add_co_u32_e32 v1, vcc, s21, v1
	s_cmp_lg_u64 vcc, 0
	s_addc_u32 s20, s20, s22
	v_readfirstlane_b32 s22, v1
	s_mul_i32 s21, s0, s20
	s_mul_hi_u32 s23, s0, s22
	s_add_i32 s21, s23, s21
	s_mul_i32 s1, s1, s22
	s_add_i32 s21, s21, s1
	s_mul_i32 s0, s0, s22
	s_mul_hi_u32 s23, s20, s0
	s_mul_i32 s24, s20, s0
	s_mul_i32 s26, s22, s21
	s_mul_hi_u32 s0, s22, s0
	s_mul_hi_u32 s25, s22, s21
	s_add_u32 s0, s0, s26
	s_addc_u32 s22, 0, s25
	s_add_u32 s0, s0, s24
	s_mul_hi_u32 s1, s20, s21
	s_addc_u32 s0, s22, s23
	s_addc_u32 s1, s1, 0
	s_mul_i32 s21, s20, s21
	s_add_u32 s0, s0, s21
	s_addc_u32 s1, 0, s1
	v_add_co_u32_e32 v1, vcc, s0, v1
	s_cmp_lg_u64 vcc, 0
	s_addc_u32 s0, s20, s1
	v_readfirstlane_b32 s20, v1
	s_mul_hi_u32 s1, s6, s0
	s_mul_i32 s0, s6, s0
	s_mul_hi_u32 s20, s6, s20
	s_add_u32 s0, s20, s0
	s_addc_u32 s1, 0, s1
	s_add_u32 s0, s0, 0
	s_addc_u32 s0, s1, 0
	s_addc_u32 s1, 0, 0
	s_add_u32 s20, s0, 0
	s_addc_u32 s21, 0, s1
	s_mul_i32 s0, s16, s21
	s_mul_hi_u32 s1, s16, s20
	s_add_i32 s0, s1, s0
	s_mul_i32 s1, s17, s20
	s_add_i32 s22, s0, s1
	s_mul_i32 s1, s16, s20
	v_mov_b32_e32 v1, s1
	s_sub_i32 s0, 0, s22
	v_sub_co_u32_e32 v1, vcc, s6, v1
	s_cmp_lg_u64 vcc, 0
	s_subb_u32 s23, s0, s17
	v_subrev_co_u32_e64 v2, s[0:1], s16, v1
	s_cmp_lg_u64 s[0:1], 0
	s_subb_u32 s0, s23, 0
	s_cmp_ge_u32 s0, s17
	v_readfirstlane_b32 s23, v2
	s_cselect_b32 s1, -1, 0
	s_cmp_ge_u32 s23, s16
	s_cselect_b32 s23, -1, 0
	s_cmp_eq_u32 s0, s17
	s_cselect_b32 s0, s23, s1
	s_add_u32 s1, s20, 1
	s_addc_u32 s23, s21, 0
	s_add_u32 s24, s20, 2
	s_addc_u32 s25, s21, 0
	s_cmp_lg_u32 s0, 0
	s_cselect_b32 s0, s24, s1
	s_cselect_b32 s1, s25, s23
	s_cmp_lg_u64 vcc, 0
	s_subb_u32 s22, 0, s22
	s_cmp_ge_u32 s22, s17
	v_readfirstlane_b32 s24, v1
	s_cselect_b32 s23, -1, 0
	s_cmp_ge_u32 s24, s16
	s_cselect_b32 s16, -1, 0
	s_cmp_eq_u32 s22, s17
	s_cselect_b32 s16, s16, s23
	s_cmp_lg_u32 s16, 0
	s_cselect_b32 s1, s1, s21
	s_cselect_b32 s0, s0, s20
	s_xor_b64 s[0:1], s[0:1], s[2:3]
	s_sub_u32 s16, s0, s2
	s_subb_u32 s17, s1, s2
	s_cbranch_execnz .LBB35_3
.LBB35_2:
	v_cvt_f32_u32_e32 v1, s7
	s_sub_i32 s0, 0, s7
	s_mov_b32 s17, 0
	v_rcp_iflag_f32_e32 v1, v1
	v_mul_f32_e32 v1, 0x4f7ffffe, v1
	v_cvt_u32_f32_e32 v1, v1
	v_readfirstlane_b32 s1, v1
	s_mul_i32 s0, s0, s1
	s_mul_hi_u32 s0, s1, s0
	s_add_i32 s1, s1, s0
	s_mul_hi_u32 s0, s6, s1
	s_mul_i32 s2, s0, s7
	s_sub_i32 s2, s6, s2
	s_add_i32 s1, s0, 1
	s_sub_i32 s3, s2, s7
	s_cmp_ge_u32 s2, s7
	s_cselect_b32 s0, s1, s0
	s_cselect_b32 s2, s3, s2
	s_add_i32 s1, s0, 1
	s_cmp_ge_u32 s2, s7
	s_cselect_b32 s16, s1, s0
.LBB35_3:
	s_mul_i32 s0, s16, s7
	s_load_dwordx2 s[2:3], s[4:5], 0x8
	s_sub_i32 s18, s6, s0
	s_ashr_i32 s19, s18, 31
	s_or_b64 s[0:1], s[18:19], s[14:15]
	s_mov_b32 s0, 0
	s_cmp_lg_u64 s[0:1], 0
	s_cbranch_scc0 .LBB35_37
; %bb.4:
	s_ashr_i32 s20, s15, 31
	s_add_u32 s0, s14, s20
	s_mov_b32 s21, s20
	s_addc_u32 s1, s15, s20
	s_xor_b64 s[24:25], s[0:1], s[20:21]
	v_cvt_f32_u32_e32 v1, s24
	v_cvt_f32_u32_e32 v2, s25
	s_sub_u32 s0, 0, s24
	s_subb_u32 s1, 0, s25
	v_madmk_f32 v1, v2, 0x4f800000, v1
	v_rcp_f32_e32 v1, v1
	v_mul_f32_e32 v1, 0x5f7ffffc, v1
	v_mul_f32_e32 v2, 0x2f800000, v1
	v_trunc_f32_e32 v2, v2
	v_madmk_f32 v1, v2, 0xcf800000, v1
	v_cvt_u32_f32_e32 v2, v2
	v_cvt_u32_f32_e32 v1, v1
	v_readfirstlane_b32 s7, v2
	v_readfirstlane_b32 s26, v1
	s_mul_i32 s27, s0, s7
	s_mul_hi_u32 s29, s0, s26
	s_mul_i32 s28, s1, s26
	s_add_i32 s27, s29, s27
	s_add_i32 s27, s27, s28
	s_mul_i32 s30, s0, s26
	s_mul_hi_u32 s28, s26, s27
	s_mul_i32 s29, s26, s27
	s_mul_hi_u32 s26, s26, s30
	s_add_u32 s26, s26, s29
	s_addc_u32 s28, 0, s28
	s_mul_hi_u32 s31, s7, s30
	s_mul_i32 s30, s7, s30
	s_add_u32 s26, s26, s30
	s_mul_hi_u32 s29, s7, s27
	s_addc_u32 s26, s28, s31
	s_addc_u32 s28, s29, 0
	s_mul_i32 s27, s7, s27
	s_add_u32 s26, s26, s27
	s_addc_u32 s27, 0, s28
	v_add_co_u32_e32 v1, vcc, s26, v1
	s_cmp_lg_u64 vcc, 0
	s_addc_u32 s7, s7, s27
	v_readfirstlane_b32 s27, v1
	s_mul_i32 s26, s0, s7
	s_mul_hi_u32 s28, s0, s27
	s_add_i32 s26, s28, s26
	s_mul_i32 s1, s1, s27
	s_add_i32 s26, s26, s1
	s_mul_i32 s0, s0, s27
	s_mul_hi_u32 s28, s7, s0
	s_mul_i32 s29, s7, s0
	s_mul_i32 s31, s27, s26
	s_mul_hi_u32 s0, s27, s0
	s_mul_hi_u32 s30, s27, s26
	s_add_u32 s0, s0, s31
	s_addc_u32 s27, 0, s30
	s_add_u32 s0, s0, s29
	s_mul_hi_u32 s1, s7, s26
	s_addc_u32 s0, s27, s28
	s_addc_u32 s1, s1, 0
	s_mul_i32 s26, s7, s26
	s_add_u32 s0, s0, s26
	s_addc_u32 s1, 0, s1
	v_add_co_u32_e32 v1, vcc, s0, v1
	s_cmp_lg_u64 vcc, 0
	s_addc_u32 s7, s7, s1
	s_add_u32 s0, s18, s19
	s_mov_b32 s26, s19
	s_mov_b32 s27, s19
	s_addc_u32 s1, s19, s19
	s_xor_b64 s[28:29], s[0:1], s[26:27]
	v_readfirstlane_b32 s30, v1
	s_mul_i32 s1, s28, s7
	s_mul_hi_u32 s31, s28, s30
	s_mul_hi_u32 s0, s28, s7
	s_add_u32 s1, s31, s1
	s_addc_u32 s0, 0, s0
	s_mul_hi_u32 s33, s29, s30
	s_mul_i32 s30, s29, s30
	s_add_u32 s1, s1, s30
	s_mul_hi_u32 s31, s29, s7
	s_addc_u32 s0, s0, s33
	s_addc_u32 s1, s31, 0
	s_mul_i32 s7, s29, s7
	s_add_u32 s7, s0, s7
	s_addc_u32 s30, 0, s1
	s_mul_i32 s0, s24, s30
	s_mul_hi_u32 s1, s24, s7
	s_add_i32 s0, s1, s0
	s_mul_i32 s1, s25, s7
	s_add_i32 s31, s0, s1
	s_mul_i32 s1, s24, s7
	v_mov_b32_e32 v1, s1
	s_sub_i32 s0, s29, s31
	v_sub_co_u32_e32 v1, vcc, s28, v1
	s_cmp_lg_u64 vcc, 0
	s_subb_u32 s28, s0, s25
	v_subrev_co_u32_e64 v2, s[0:1], s24, v1
	s_cmp_lg_u64 s[0:1], 0
	s_subb_u32 s0, s28, 0
	s_cmp_ge_u32 s0, s25
	v_readfirstlane_b32 s28, v2
	s_cselect_b32 s1, -1, 0
	s_cmp_ge_u32 s28, s24
	s_cselect_b32 s28, -1, 0
	s_cmp_eq_u32 s0, s25
	s_cselect_b32 s0, s28, s1
	s_add_u32 s1, s7, 1
	s_addc_u32 s28, s30, 0
	s_add_u32 s33, s7, 2
	s_addc_u32 s34, s30, 0
	s_cmp_lg_u32 s0, 0
	s_cselect_b32 s0, s33, s1
	s_cselect_b32 s1, s34, s28
	s_cmp_lg_u64 vcc, 0
	s_subb_u32 s28, s29, s31
	s_cmp_ge_u32 s28, s25
	v_readfirstlane_b32 s31, v1
	s_cselect_b32 s29, -1, 0
	s_cmp_ge_u32 s31, s24
	s_cselect_b32 s24, -1, 0
	s_cmp_eq_u32 s28, s25
	s_cselect_b32 s24, s24, s29
	s_cmp_lg_u32 s24, 0
	s_cselect_b32 s1, s1, s30
	s_cselect_b32 s0, s0, s7
	s_xor_b64 s[20:21], s[26:27], s[20:21]
	s_xor_b64 s[0:1], s[0:1], s[20:21]
	s_sub_u32 s20, s0, s20
	s_subb_u32 s21, s1, s21
	s_cbranch_execnz .LBB35_6
.LBB35_5:
	v_cvt_f32_u32_e32 v1, s14
	s_sub_i32 s0, 0, s14
	s_mov_b32 s21, 0
	v_rcp_iflag_f32_e32 v1, v1
	v_mul_f32_e32 v1, 0x4f7ffffe, v1
	v_cvt_u32_f32_e32 v1, v1
	v_readfirstlane_b32 s1, v1
	s_mul_i32 s0, s0, s1
	s_mul_hi_u32 s0, s1, s0
	s_add_i32 s1, s1, s0
	s_mul_hi_u32 s0, s18, s1
	s_mul_i32 s7, s0, s14
	s_sub_i32 s7, s18, s7
	s_add_i32 s1, s0, 1
	s_sub_i32 s20, s7, s14
	s_cmp_ge_u32 s7, s14
	s_cselect_b32 s0, s1, s0
	s_cselect_b32 s7, s20, s7
	s_add_i32 s1, s0, 1
	s_cmp_ge_u32 s7, s14
	s_cselect_b32 s20, s1, s0
.LBB35_6:
	s_mul_i32 s0, s20, s15
	s_mul_hi_u32 s1, s20, s14
	s_add_i32 s0, s1, s0
	s_mul_i32 s1, s21, s14
	s_add_i32 s0, s0, s1
	s_mul_i32 s1, s20, s14
	s_sub_u32 s7, s18, s1
	s_subb_u32 s14, s19, s0
	s_bfe_i64 s[0:1], s[16:17], 0x200000
	s_mul_i32 s0, s16, s13
	s_mul_hi_u32 s13, s16, s12
	s_add_i32 s0, s13, s0
	s_mul_i32 s1, s1, s12
	s_add_i32 s1, s0, s1
	s_mul_i32 s0, s16, s12
	s_lshl_b64 s[0:1], s[0:1], 1
	s_waitcnt lgkmcnt(0)
	s_add_u32 s15, s2, s0
	s_addc_u32 s16, s3, s1
	s_bfe_i64 s[12:13], s[20:21], 0x200000
	s_mul_i32 s11, s20, s11
	s_mul_hi_u32 s12, s20, s10
	s_add_i32 s11, s12, s11
	s_mul_i32 s12, s13, s10
	s_add_i32 s11, s11, s12
	s_mul_i32 s10, s20, s10
	s_lshl_b64 s[10:11], s[10:11], 1
	s_add_u32 s12, s15, s10
	s_mul_i32 s9, s7, s9
	s_mul_hi_u32 s15, s7, s8
	s_addc_u32 s13, s16, s11
	s_add_i32 s9, s15, s9
	s_mul_i32 s14, s14, s8
	s_add_i32 s9, s9, s14
	s_load_dword s20, s[4:5], 0x48
	s_load_dword s14, s[4:5], 0x5c
	s_mul_i32 s8, s7, s8
	s_lshl_b64 s[8:9], s[8:9], 1
	s_add_u32 s7, s12, s8
	s_addc_u32 s18, s13, s9
	s_waitcnt lgkmcnt(0)
	s_and_b32 s19, s14, 0xffff
	s_and_b32 s12, s7, 31
	s_mov_b32 s13, 0
	s_cmp_lg_u64 s[12:13], 0
	s_cselect_b64 s[12:13], -1, 0
	s_and_b32 s14, s20, 15
	s_cmp_lg_u32 s14, 0
	s_cselect_b64 s[14:15], -1, 0
	s_or_b64 s[12:13], s[14:15], s[12:13]
	s_and_b64 vcc, exec, s[12:13]
	s_cbranch_vccz .LBB35_20
; %bb.7:
	s_sub_i32 s12, 0, s7
	s_bfe_u32 s12, s12, 0x40001
	s_min_i32 s12, s12, s20
	v_cmp_gt_i32_e32 vcc, s12, v0
	v_mov_b32_e32 v1, 0
	s_and_saveexec_b64 s[14:15], vcc
	s_cbranch_execz .LBB35_11
; %bb.8:
	s_add_u32 s13, s8, s0
	s_addc_u32 s16, s9, s1
	s_add_u32 s13, s13, s10
	s_addc_u32 s16, s16, s11
	s_add_u32 s13, s2, s13
	v_lshlrev_b32_e32 v1, 1, v0
	s_addc_u32 s16, s3, s16
	s_mov_b32 s21, 0
	v_mov_b32_e32 v3, s16
	v_add_co_u32_e32 v2, vcc, s13, v1
	v_addc_co_u32_e32 v3, vcc, 0, v3, vcc
	s_lshl_b32 s13, s19, 1
	s_mov_b64 s[16:17], 0
	v_mov_b32_e32 v1, 0
	v_mov_b32_e32 v4, s21
	v_mov_b32_e32 v5, v0
.LBB35_9:                               ; =>This Inner Loop Header: Depth=1
	global_load_ushort v6, v[2:3], off
	v_add_co_u32_e32 v2, vcc, s13, v2
	v_add_u32_e32 v5, s19, v5
	v_addc_co_u32_e32 v3, vcc, v3, v4, vcc
	v_cmp_le_i32_e32 vcc, s12, v5
	s_or_b64 s[16:17], vcc, s[16:17]
	s_waitcnt vmcnt(0)
	v_fma_mix_f32 v1, v6, v6, v1 op_sel_hi:[1,1,0]
	s_andn2_b64 exec, exec, s[16:17]
	s_cbranch_execnz .LBB35_9
; %bb.10:
	s_or_b64 exec, exec, s[16:17]
.LBB35_11:
	s_or_b64 exec, exec, s[14:15]
	s_sub_i32 s21, s20, s12
	s_ashr_i32 s14, s21, 31
	s_lshr_b32 s14, s14, 28
	s_add_i32 s14, s21, s14
	s_ashr_i32 s22, s14, 4
	s_ashr_i32 s13, s12, 31
	v_cmp_gt_i32_e32 vcc, s22, v0
	s_and_saveexec_b64 s[14:15], vcc
	s_cbranch_execz .LBB35_15
; %bb.12:
	s_add_u32 s16, s8, s0
	s_addc_u32 s17, s9, s1
	s_add_u32 s23, s16, s10
	s_addc_u32 s24, s17, s11
	s_lshl_b64 s[16:17], s[12:13], 1
	s_add_u32 s16, s2, s16
	s_addc_u32 s17, s3, s17
	s_add_u32 s16, s16, s23
	v_lshlrev_b32_e32 v2, 5, v0
	s_addc_u32 s17, s17, s24
	s_mov_b32 s25, 0
	v_mov_b32_e32 v3, s17
	v_add_co_u32_e32 v2, vcc, s16, v2
	v_addc_co_u32_e32 v3, vcc, 0, v3, vcc
	s_lshl_b32 s23, s19, 5
	s_mov_b64 s[16:17], 0
	v_mov_b32_e32 v4, s25
	v_mov_b32_e32 v5, v0
.LBB35_13:                              ; =>This Inner Loop Header: Depth=1
	global_load_dwordx4 v[6:9], v[2:3], off
	global_load_dwordx4 v[10:13], v[2:3], off offset:16
	v_add_co_u32_e32 v2, vcc, s23, v2
	v_add_u32_e32 v5, s19, v5
	v_addc_co_u32_e32 v3, vcc, v3, v4, vcc
	v_cmp_le_i32_e32 vcc, s22, v5
	s_or_b64 s[16:17], vcc, s[16:17]
	s_waitcnt vmcnt(1)
	v_fma_mix_f32 v1, v6, v6, v1 op_sel_hi:[1,1,0]
	v_fma_mix_f32 v1, v6, v6, v1 op_sel:[1,1,0] op_sel_hi:[1,1,0]
	v_fma_mix_f32 v1, v7, v7, v1 op_sel_hi:[1,1,0]
	v_fma_mix_f32 v1, v7, v7, v1 op_sel:[1,1,0] op_sel_hi:[1,1,0]
	;; [unrolled: 2-line block ×4, first 2 shown]
	s_waitcnt vmcnt(0)
	v_fma_mix_f32 v1, v10, v10, v1 op_sel_hi:[1,1,0]
	v_fma_mix_f32 v1, v10, v10, v1 op_sel:[1,1,0] op_sel_hi:[1,1,0]
	v_fma_mix_f32 v1, v11, v11, v1 op_sel_hi:[1,1,0]
	v_fma_mix_f32 v1, v11, v11, v1 op_sel:[1,1,0] op_sel_hi:[1,1,0]
	;; [unrolled: 2-line block ×4, first 2 shown]
	s_andn2_b64 exec, exec, s[16:17]
	s_cbranch_execnz .LBB35_13
; %bb.14:
	s_or_b64 exec, exec, s[16:17]
.LBB35_15:
	s_or_b64 exec, exec, s[14:15]
	v_lshl_add_u32 v2, s22, 4, v0
	v_cmp_gt_i32_e32 vcc, s21, v2
	s_and_saveexec_b64 s[14:15], vcc
	s_cbranch_execz .LBB35_19
; %bb.16:
	s_add_u32 s16, s8, s0
	s_addc_u32 s17, s9, s1
	s_add_u32 s16, s16, s10
	s_addc_u32 s17, s17, s11
	s_lshl_b64 s[12:13], s[12:13], 1
	s_add_u32 s12, s16, s12
	s_addc_u32 s13, s17, s13
	v_ashrrev_i32_e32 v3, 31, v2
	s_add_u32 s12, s2, s12
	v_lshlrev_b64 v[4:5], 1, v[2:3]
	s_addc_u32 s13, s3, s13
	v_mov_b32_e32 v3, s13
	v_add_co_u32_e32 v4, vcc, s12, v4
	s_mov_b32 s17, 0
	v_addc_co_u32_e32 v5, vcc, v3, v5, vcc
	s_lshl_b32 s16, s19, 1
	s_mov_b64 s[12:13], 0
	v_mov_b32_e32 v3, s17
.LBB35_17:                              ; =>This Inner Loop Header: Depth=1
	global_load_ushort v6, v[4:5], off
	v_add_co_u32_e32 v4, vcc, s16, v4
	v_add_u32_e32 v2, s19, v2
	v_addc_co_u32_e32 v5, vcc, v5, v3, vcc
	v_cmp_le_i32_e32 vcc, s21, v2
	s_or_b64 s[12:13], vcc, s[12:13]
	s_waitcnt vmcnt(0)
	v_fma_mix_f32 v1, v6, v6, v1 op_sel_hi:[1,1,0]
	s_andn2_b64 exec, exec, s[12:13]
	s_cbranch_execnz .LBB35_17
; %bb.18:
	s_or_b64 exec, exec, s[12:13]
.LBB35_19:
	s_or_b64 exec, exec, s[14:15]
	s_branch .LBB35_26
.LBB35_20:
                                        ; implicit-def: $vgpr1
	s_cbranch_execz .LBB35_26
; %bb.21:
	s_ashr_i32 s14, s20, 4
	v_cmp_gt_i32_e32 vcc, s14, v0
	v_mov_b32_e32 v1, 0
	s_and_saveexec_b64 s[12:13], vcc
	s_cbranch_execz .LBB35_25
; %bb.22:
	s_add_u32 s0, s8, s0
	s_addc_u32 s1, s9, s1
	s_add_u32 s0, s0, s10
	s_addc_u32 s1, s1, s11
	s_add_u32 s0, s2, s0
	v_lshlrev_b32_e32 v1, 5, v0
	s_addc_u32 s1, s3, s1
	s_mov_b32 s8, 0
	v_mov_b32_e32 v3, s1
	v_add_co_u32_e32 v2, vcc, s0, v1
	v_addc_co_u32_e32 v3, vcc, 0, v3, vcc
	s_lshl_b32 s2, s19, 5
	s_mov_b64 s[0:1], 0
	v_mov_b32_e32 v1, 0
	v_mov_b32_e32 v4, s8
	;; [unrolled: 1-line block ×3, first 2 shown]
.LBB35_23:                              ; =>This Inner Loop Header: Depth=1
	global_load_dwordx4 v[6:9], v[2:3], off
	global_load_dwordx4 v[10:13], v[2:3], off offset:16
	v_add_co_u32_e32 v2, vcc, s2, v2
	v_add_u32_e32 v5, s19, v5
	v_addc_co_u32_e32 v3, vcc, v3, v4, vcc
	v_cmp_le_i32_e32 vcc, s14, v5
	s_or_b64 s[0:1], vcc, s[0:1]
	s_waitcnt vmcnt(1)
	v_fma_mix_f32 v1, v6, v6, v1 op_sel_hi:[1,1,0]
	v_fma_mix_f32 v1, v6, v6, v1 op_sel:[1,1,0] op_sel_hi:[1,1,0]
	v_fma_mix_f32 v1, v7, v7, v1 op_sel_hi:[1,1,0]
	v_fma_mix_f32 v1, v7, v7, v1 op_sel:[1,1,0] op_sel_hi:[1,1,0]
	v_fma_mix_f32 v1, v8, v8, v1 op_sel_hi:[1,1,0]
	v_fma_mix_f32 v1, v8, v8, v1 op_sel:[1,1,0] op_sel_hi:[1,1,0]
	v_fma_mix_f32 v1, v9, v9, v1 op_sel_hi:[1,1,0]
	v_fma_mix_f32 v1, v9, v9, v1 op_sel:[1,1,0] op_sel_hi:[1,1,0]
	s_waitcnt vmcnt(0)
	v_fma_mix_f32 v1, v10, v10, v1 op_sel_hi:[1,1,0]
	v_fma_mix_f32 v1, v10, v10, v1 op_sel:[1,1,0] op_sel_hi:[1,1,0]
	v_fma_mix_f32 v1, v11, v11, v1 op_sel_hi:[1,1,0]
	v_fma_mix_f32 v1, v11, v11, v1 op_sel:[1,1,0] op_sel_hi:[1,1,0]
	;; [unrolled: 2-line block ×4, first 2 shown]
	s_andn2_b64 exec, exec, s[0:1]
	s_cbranch_execnz .LBB35_23
; %bb.24:
	s_or_b64 exec, exec, s[0:1]
.LBB35_25:
	s_or_b64 exec, exec, s[12:13]
.LBB35_26:
	v_mbcnt_lo_u32_b32 v2, -1, 0
	v_mbcnt_hi_u32_b32 v2, -1, v2
	v_and_b32_e32 v3, 63, v2
	v_cmp_ne_u32_e32 vcc, 63, v3
	v_addc_co_u32_e32 v4, vcc, 0, v2, vcc
	v_lshlrev_b32_e32 v4, 2, v4
	ds_bpermute_b32 v4, v4, v1
	v_and_b32_e32 v5, 0x3c0, v0
	v_sub_u32_e64 v5, s19, v5 clamp
	v_add_u32_e32 v6, 1, v2
	v_cmp_lt_u32_e32 vcc, v6, v5
	s_waitcnt lgkmcnt(0)
	v_add_f32_e32 v4, v1, v4
	v_cndmask_b32_e32 v1, v1, v4, vcc
	v_cmp_gt_u32_e32 vcc, 62, v3
	v_cndmask_b32_e64 v4, 0, 1, vcc
	v_lshlrev_b32_e32 v4, 1, v4
	v_add_lshl_u32 v4, v4, v2, 2
	ds_bpermute_b32 v4, v4, v1
	v_add_u32_e32 v6, 2, v2
	v_cmp_lt_u32_e32 vcc, v6, v5
	v_add_u32_e32 v6, 4, v2
	s_waitcnt lgkmcnt(0)
	v_add_f32_e32 v4, v1, v4
	v_cndmask_b32_e32 v1, v1, v4, vcc
	v_cmp_gt_u32_e32 vcc, 60, v3
	v_cndmask_b32_e64 v4, 0, 1, vcc
	v_lshlrev_b32_e32 v4, 2, v4
	v_add_lshl_u32 v4, v4, v2, 2
	ds_bpermute_b32 v4, v4, v1
	v_cmp_lt_u32_e32 vcc, v6, v5
	v_add_u32_e32 v6, 8, v2
	s_waitcnt lgkmcnt(0)
	v_add_f32_e32 v4, v1, v4
	v_cndmask_b32_e32 v1, v1, v4, vcc
	v_cmp_gt_u32_e32 vcc, 56, v3
	v_cndmask_b32_e64 v4, 0, 1, vcc
	v_lshlrev_b32_e32 v4, 3, v4
	v_add_lshl_u32 v4, v4, v2, 2
	ds_bpermute_b32 v4, v4, v1
	;; [unrolled: 10-line block ×3, first 2 shown]
	v_cmp_lt_u32_e32 vcc, v6, v5
	s_waitcnt lgkmcnt(0)
	v_add_f32_e32 v4, v1, v4
	v_cndmask_b32_e32 v1, v1, v4, vcc
	v_cmp_gt_u32_e32 vcc, 32, v3
	v_cndmask_b32_e64 v3, 0, 1, vcc
	v_lshlrev_b32_e32 v3, 5, v3
	v_add_lshl_u32 v3, v3, v2, 2
	ds_bpermute_b32 v3, v3, v1
	v_add_u32_e32 v4, 32, v2
	v_cmp_lt_u32_e32 vcc, v4, v5
	s_waitcnt lgkmcnt(0)
	v_add_f32_e32 v3, v1, v3
	v_cndmask_b32_e32 v1, v1, v3, vcc
	v_cmp_eq_u32_e32 vcc, 0, v2
	s_and_saveexec_b64 s[0:1], vcc
	s_cbranch_execz .LBB35_28
; %bb.27:
	v_lshrrev_b32_e32 v3, 4, v0
	v_and_b32_e32 v3, 60, v3
	ds_write_b32 v3, v1
.LBB35_28:
	s_or_b64 exec, exec, s[0:1]
	v_cmp_gt_u32_e32 vcc, 16, v0
	s_waitcnt lgkmcnt(0)
	s_barrier
	s_and_saveexec_b64 s[2:3], vcc
	s_cbranch_execz .LBB35_30
; %bb.29:
	v_lshlrev_b32_e32 v1, 2, v2
	ds_read_b32 v1, v1
	v_and_b32_e32 v3, 15, v2
	v_cmp_ne_u32_e32 vcc, 15, v3
	v_addc_co_u32_e32 v4, vcc, 0, v2, vcc
	v_lshlrev_b32_e32 v4, 2, v4
	s_waitcnt lgkmcnt(0)
	ds_bpermute_b32 v4, v4, v1
	s_add_i32 s0, s19, 63
	s_lshr_b32 s8, s0, 6
	v_add_u32_e32 v5, 1, v3
	v_cmp_gt_u32_e64 s[0:1], 14, v3
	v_cmp_gt_u32_e32 vcc, s8, v5
	v_cndmask_b32_e64 v5, 0, 1, s[0:1]
	s_waitcnt lgkmcnt(0)
	v_add_f32_e32 v4, v1, v4
	v_lshlrev_b32_e32 v5, 1, v5
	v_cndmask_b32_e32 v4, v1, v4, vcc
	v_add_lshl_u32 v5, v5, v2, 2
	ds_bpermute_b32 v5, v5, v4
	v_add_u32_e32 v6, 2, v3
	v_cmp_gt_u32_e64 s[0:1], s8, v6
	v_add_u32_e32 v6, 4, v3
	s_waitcnt lgkmcnt(0)
	v_add_f32_e32 v5, v4, v5
	v_cndmask_b32_e64 v4, v4, v5, s[0:1]
	v_cmp_gt_u32_e64 s[0:1], 12, v3
	v_cndmask_b32_e64 v5, 0, 1, s[0:1]
	v_lshlrev_b32_e32 v5, 2, v5
	v_add_lshl_u32 v5, v5, v2, 2
	ds_bpermute_b32 v5, v5, v4
	v_cmp_gt_u32_e64 s[0:1], s8, v6
	s_waitcnt lgkmcnt(0)
	v_add_f32_e32 v5, v4, v5
	v_cndmask_b32_e64 v4, v4, v5, s[0:1]
	v_cmp_gt_u32_e64 s[0:1], 8, v3
	v_cndmask_b32_e64 v5, 0, 1, s[0:1]
	v_lshlrev_b32_e32 v5, 3, v5
	v_add_lshl_u32 v2, v5, v2, 2
	ds_bpermute_b32 v2, v2, v4
	v_add_u32_e32 v3, 8, v3
	v_cmp_gt_u32_e64 s[0:1], s8, v3
	s_waitcnt lgkmcnt(0)
	v_add_f32_e32 v2, v4, v2
	v_cndmask_b32_e64 v2, v4, v2, s[0:1]
	v_cndmask_b32_e32 v1, v1, v2, vcc
.LBB35_30:
	s_or_b64 exec, exec, s[2:3]
	v_cmp_eq_u32_e32 vcc, 0, v0
	s_and_saveexec_b64 s[0:1], vcc
	s_cbranch_execz .LBB35_32
; %bb.31:
	v_cvt_f32_i32_e32 v2, s20
	s_load_dword s8, s[4:5], 0x40
	v_div_scale_f32 v3, s[2:3], v2, v2, v1
	v_rcp_f32_e32 v4, v3
	v_div_scale_f32 v5, vcc, v1, v2, v1
	s_mov_b32 s2, 0x800000
	v_fma_f32 v6, -v3, v4, 1.0
	v_fmac_f32_e32 v4, v6, v4
	v_mul_f32_e32 v6, v5, v4
	v_fma_f32 v7, -v3, v6, v5
	v_fmac_f32_e32 v6, v7, v4
	v_fma_f32 v3, -v3, v6, v5
	v_div_fmas_f32 v3, v3, v4, v6
	v_div_fixup_f32 v1, v3, v2, v1
	s_waitcnt lgkmcnt(0)
	v_add_f32_e32 v1, s8, v1
	v_mul_f32_e32 v2, 0x4b800000, v1
	v_cmp_gt_f32_e32 vcc, s2, v1
	v_cndmask_b32_e32 v1, v1, v2, vcc
	v_rsq_f32_e32 v1, v1
	v_mul_f32_e32 v2, 0x45800000, v1
	v_cndmask_b32_e32 v1, v1, v2, vcc
	v_mov_b32_e32 v2, 0
	ds_write_b32 v2, v1 offset:64
.LBB35_32:
	s_or_b64 exec, exec, s[0:1]
	s_ashr_i32 s0, s20, 31
	s_lshr_b32 s0, s0, 28
	s_add_i32 s0, s20, s0
	s_ashr_i32 s8, s0, 4
	v_cmp_gt_i32_e32 vcc, s8, v0
	s_waitcnt lgkmcnt(0)
	s_barrier
	s_and_saveexec_b64 s[0:1], vcc
	s_cbranch_execz .LBB35_35
; %bb.33:
	v_mov_b32_e32 v1, 0
	s_load_dwordx2 s[0:1], s[4:5], 0x0
	s_load_dwordx2 s[2:3], s[4:5], 0x38
	ds_read_b32 v2, v1 offset:64
	s_mul_i32 s4, s6, s20
	s_mov_b32 s5, 0
	s_lshl_b64 s[4:5], s[4:5], 1
	s_waitcnt lgkmcnt(0)
	s_add_u32 s6, s0, s4
	s_addc_u32 s9, s1, s5
	v_mov_b32_e32 v3, v2
	v_lshlrev_b32_e32 v4, 5, v0
	s_lshl_b32 s10, s19, 5
	s_mov_b64 s[4:5], 0
	v_mov_b32_e32 v6, v2
	v_mov_b32_e32 v7, v2
.LBB35_34:                              ; =>This Inner Loop Header: Depth=1
	v_mov_b32_e32 v1, s18
	v_add_co_u32_e64 v16, s[0:1], s7, v4
	v_addc_co_u32_e64 v17, s[0:1], 0, v1, s[0:1]
	global_load_dwordx4 v[8:11], v[16:17], off
	global_load_dwordx4 v[12:15], v[16:17], off offset:16
	v_mov_b32_e32 v5, s3
	v_add_co_u32_e32 v24, vcc, s2, v4
	v_addc_co_u32_e32 v25, vcc, 0, v5, vcc
	global_load_dwordx4 v[16:19], v[24:25], off
	global_load_dwordx4 v[20:23], v[24:25], off offset:16
	v_mov_b32_e32 v1, s9
	v_add_co_u32_e32 v24, vcc, s6, v4
	s_add_u32 s6, s6, s10
	v_addc_co_u32_e32 v25, vcc, 0, v1, vcc
	s_addc_u32 s9, s9, 0
	s_add_u32 s7, s7, s10
	s_addc_u32 s18, s18, 0
	v_add_u32_e32 v0, s19, v0
	s_add_u32 s2, s2, s10
	v_cmp_le_i32_e32 vcc, s8, v0
	s_addc_u32 s3, s3, 0
	s_or_b64 s[4:5], vcc, s[4:5]
	s_waitcnt vmcnt(3)
	v_cvt_f32_f16_e32 v26, v8
	v_cvt_f32_f16_sdwa v27, v8 dst_sel:DWORD dst_unused:UNUSED_PAD src0_sel:WORD_1
	v_cvt_f32_f16_e32 v8, v9
	v_cvt_f32_f16_sdwa v9, v9 dst_sel:DWORD dst_unused:UNUSED_PAD src0_sel:WORD_1
	v_cvt_f32_f16_e32 v28, v10
	v_cvt_f32_f16_sdwa v29, v10 dst_sel:DWORD dst_unused:UNUSED_PAD src0_sel:WORD_1
	v_cvt_f32_f16_e32 v10, v11
	v_cvt_f32_f16_sdwa v11, v11 dst_sel:DWORD dst_unused:UNUSED_PAD src0_sel:WORD_1
	s_waitcnt vmcnt(2)
	v_cvt_f32_f16_e32 v30, v12
	v_cvt_f32_f16_sdwa v31, v12 dst_sel:DWORD dst_unused:UNUSED_PAD src0_sel:WORD_1
	v_cvt_f32_f16_e32 v12, v13
	v_cvt_f32_f16_sdwa v13, v13 dst_sel:DWORD dst_unused:UNUSED_PAD src0_sel:WORD_1
	;; [unrolled: 2-line block ×4, first 2 shown]
	v_pk_mul_f32 v[8:9], v[6:7], v[8:9]
	v_pk_mul_f32 v[26:27], v[2:3], v[26:27]
	v_pk_mul_f32 v[10:11], v[6:7], v[10:11]
	v_pk_mul_f32 v[28:29], v[2:3], v[28:29]
	v_pk_mul_f32 v[12:13], v[6:7], v[12:13]
	v_pk_mul_f32 v[30:31], v[2:3], v[30:31]
	v_pk_mul_f32 v[14:15], v[6:7], v[14:15]
	v_pk_mul_f32 v[32:33], v[2:3], v[32:33]
	v_cvt_f16_f32_e32 v1, v27
	v_cvt_f16_f32_e32 v5, v26
	;; [unrolled: 1-line block ×16, first 2 shown]
	v_pack_b32_f16 v8, v8, v9
	v_pack_b32_f16 v1, v5, v1
	;; [unrolled: 1-line block ×8, first 2 shown]
	s_waitcnt vmcnt(1)
	v_pk_mul_f16 v9, v17, v8
	v_pk_mul_f16 v8, v16, v1
	;; [unrolled: 1-line block ×4, first 2 shown]
	s_waitcnt vmcnt(0)
	v_pk_mul_f16 v13, v21, v12
	v_pk_mul_f16 v12, v20, v26
	;; [unrolled: 1-line block ×4, first 2 shown]
	global_store_dwordx4 v[24:25], v[8:11], off
	global_store_dwordx4 v[24:25], v[12:15], off offset:16
	s_andn2_b64 exec, exec, s[4:5]
	s_cbranch_execnz .LBB35_34
.LBB35_35:
	s_endpgm
.LBB35_36:
                                        ; implicit-def: $sgpr16_sgpr17
	s_branch .LBB35_2
.LBB35_37:
                                        ; implicit-def: $sgpr20_sgpr21
	s_branch .LBB35_5
	.section	.rodata,"a",@progbits
	.p2align	6, 0x0
	.amdhsa_kernel _ZN4vllm15rms_norm_kernelIN3c104HalfELi16ELi4EEEvPT_PKS3_lllllS6_fii
		.amdhsa_group_segment_fixed_size 68
		.amdhsa_private_segment_fixed_size 0
		.amdhsa_kernarg_size 336
		.amdhsa_user_sgpr_count 6
		.amdhsa_user_sgpr_private_segment_buffer 1
		.amdhsa_user_sgpr_dispatch_ptr 0
		.amdhsa_user_sgpr_queue_ptr 0
		.amdhsa_user_sgpr_kernarg_segment_ptr 1
		.amdhsa_user_sgpr_dispatch_id 0
		.amdhsa_user_sgpr_flat_scratch_init 0
		.amdhsa_user_sgpr_kernarg_preload_length 0
		.amdhsa_user_sgpr_kernarg_preload_offset 0
		.amdhsa_user_sgpr_private_segment_size 0
		.amdhsa_uses_dynamic_stack 0
		.amdhsa_system_sgpr_private_segment_wavefront_offset 0
		.amdhsa_system_sgpr_workgroup_id_x 1
		.amdhsa_system_sgpr_workgroup_id_y 0
		.amdhsa_system_sgpr_workgroup_id_z 0
		.amdhsa_system_sgpr_workgroup_info 0
		.amdhsa_system_vgpr_workitem_id 0
		.amdhsa_next_free_vgpr 34
		.amdhsa_next_free_sgpr 35
		.amdhsa_accum_offset 36
		.amdhsa_reserve_vcc 1
		.amdhsa_reserve_flat_scratch 0
		.amdhsa_float_round_mode_32 0
		.amdhsa_float_round_mode_16_64 0
		.amdhsa_float_denorm_mode_32 3
		.amdhsa_float_denorm_mode_16_64 3
		.amdhsa_dx10_clamp 1
		.amdhsa_ieee_mode 1
		.amdhsa_fp16_overflow 0
		.amdhsa_tg_split 0
		.amdhsa_exception_fp_ieee_invalid_op 0
		.amdhsa_exception_fp_denorm_src 0
		.amdhsa_exception_fp_ieee_div_zero 0
		.amdhsa_exception_fp_ieee_overflow 0
		.amdhsa_exception_fp_ieee_underflow 0
		.amdhsa_exception_fp_ieee_inexact 0
		.amdhsa_exception_int_div_zero 0
	.end_amdhsa_kernel
	.section	.text._ZN4vllm15rms_norm_kernelIN3c104HalfELi16ELi4EEEvPT_PKS3_lllllS6_fii,"axG",@progbits,_ZN4vllm15rms_norm_kernelIN3c104HalfELi16ELi4EEEvPT_PKS3_lllllS6_fii,comdat
.Lfunc_end35:
	.size	_ZN4vllm15rms_norm_kernelIN3c104HalfELi16ELi4EEEvPT_PKS3_lllllS6_fii, .Lfunc_end35-_ZN4vllm15rms_norm_kernelIN3c104HalfELi16ELi4EEEvPT_PKS3_lllllS6_fii
                                        ; -- End function
	.section	.AMDGPU.csdata,"",@progbits
; Kernel info:
; codeLenInByte = 3884
; NumSgprs: 39
; NumVgprs: 34
; NumAgprs: 0
; TotalNumVgprs: 34
; ScratchSize: 0
; MemoryBound: 0
; FloatMode: 240
; IeeeMode: 1
; LDSByteSize: 68 bytes/workgroup (compile time only)
; SGPRBlocks: 4
; VGPRBlocks: 4
; NumSGPRsForWavesPerEU: 39
; NumVGPRsForWavesPerEU: 34
; AccumOffset: 36
; Occupancy: 8
; WaveLimiterHint : 0
; COMPUTE_PGM_RSRC2:SCRATCH_EN: 0
; COMPUTE_PGM_RSRC2:USER_SGPR: 6
; COMPUTE_PGM_RSRC2:TRAP_HANDLER: 0
; COMPUTE_PGM_RSRC2:TGID_X_EN: 1
; COMPUTE_PGM_RSRC2:TGID_Y_EN: 0
; COMPUTE_PGM_RSRC2:TGID_Z_EN: 0
; COMPUTE_PGM_RSRC2:TIDIG_COMP_CNT: 0
; COMPUTE_PGM_RSRC3_GFX90A:ACCUM_OFFSET: 8
; COMPUTE_PGM_RSRC3_GFX90A:TG_SPLIT: 0
	.section	.text._ZN4vllm15rms_norm_kernelIN3c104HalfELi8ELi4EEEvPT_PKS3_lllllS6_fii,"axG",@progbits,_ZN4vllm15rms_norm_kernelIN3c104HalfELi8ELi4EEEvPT_PKS3_lllllS6_fii,comdat
	.protected	_ZN4vllm15rms_norm_kernelIN3c104HalfELi8ELi4EEEvPT_PKS3_lllllS6_fii ; -- Begin function _ZN4vllm15rms_norm_kernelIN3c104HalfELi8ELi4EEEvPT_PKS3_lllllS6_fii
	.globl	_ZN4vllm15rms_norm_kernelIN3c104HalfELi8ELi4EEEvPT_PKS3_lllllS6_fii
	.p2align	8
	.type	_ZN4vllm15rms_norm_kernelIN3c104HalfELi8ELi4EEEvPT_PKS3_lllllS6_fii,@function
_ZN4vllm15rms_norm_kernelIN3c104HalfELi8ELi4EEEvPT_PKS3_lllllS6_fii: ; @_ZN4vllm15rms_norm_kernelIN3c104HalfELi8ELi4EEEvPT_PKS3_lllllS6_fii
; %bb.0:
	s_load_dwordx8 s[8:15], s[4:5], 0x10
	s_load_dwordx2 s[2:3], s[4:5], 0x30
	s_mov_b32 s0, 0
	s_waitcnt lgkmcnt(0)
	s_mul_i32 s1, s2, s15
	s_mul_hi_u32 s7, s2, s14
	s_add_i32 s1, s7, s1
	s_mul_i32 s3, s3, s14
	s_add_i32 s1, s1, s3
	s_cmp_lg_u64 s[0:1], 0
	s_mul_i32 s7, s2, s14
	s_cbranch_scc0 .LBB36_36
; %bb.1:
	s_ashr_i32 s2, s1, 31
	s_add_u32 s0, s7, s2
	s_mov_b32 s3, s2
	s_addc_u32 s1, s1, s2
	s_xor_b64 s[16:17], s[0:1], s[2:3]
	v_cvt_f32_u32_e32 v1, s16
	v_cvt_f32_u32_e32 v2, s17
	s_sub_u32 s0, 0, s16
	s_subb_u32 s1, 0, s17
	v_madmk_f32 v1, v2, 0x4f800000, v1
	v_rcp_f32_e32 v1, v1
	v_mul_f32_e32 v1, 0x5f7ffffc, v1
	v_mul_f32_e32 v2, 0x2f800000, v1
	v_trunc_f32_e32 v2, v2
	v_madmk_f32 v1, v2, 0xcf800000, v1
	v_cvt_u32_f32_e32 v2, v2
	v_cvt_u32_f32_e32 v1, v1
	v_readfirstlane_b32 s20, v2
	v_readfirstlane_b32 s21, v1
	s_mul_i32 s22, s0, s20
	s_mul_hi_u32 s24, s0, s21
	s_mul_i32 s23, s1, s21
	s_add_i32 s22, s24, s22
	s_add_i32 s22, s22, s23
	s_mul_i32 s25, s0, s21
	s_mul_hi_u32 s23, s21, s22
	s_mul_i32 s24, s21, s22
	s_mul_hi_u32 s21, s21, s25
	s_add_u32 s21, s21, s24
	s_addc_u32 s23, 0, s23
	s_mul_hi_u32 s26, s20, s25
	s_mul_i32 s25, s20, s25
	s_add_u32 s21, s21, s25
	s_mul_hi_u32 s24, s20, s22
	s_addc_u32 s21, s23, s26
	s_addc_u32 s23, s24, 0
	s_mul_i32 s22, s20, s22
	s_add_u32 s21, s21, s22
	s_addc_u32 s22, 0, s23
	v_add_co_u32_e32 v1, vcc, s21, v1
	s_cmp_lg_u64 vcc, 0
	s_addc_u32 s20, s20, s22
	v_readfirstlane_b32 s22, v1
	s_mul_i32 s21, s0, s20
	s_mul_hi_u32 s23, s0, s22
	s_add_i32 s21, s23, s21
	s_mul_i32 s1, s1, s22
	s_add_i32 s21, s21, s1
	s_mul_i32 s0, s0, s22
	s_mul_hi_u32 s23, s20, s0
	s_mul_i32 s24, s20, s0
	s_mul_i32 s26, s22, s21
	s_mul_hi_u32 s0, s22, s0
	s_mul_hi_u32 s25, s22, s21
	s_add_u32 s0, s0, s26
	s_addc_u32 s22, 0, s25
	s_add_u32 s0, s0, s24
	s_mul_hi_u32 s1, s20, s21
	s_addc_u32 s0, s22, s23
	s_addc_u32 s1, s1, 0
	s_mul_i32 s21, s20, s21
	s_add_u32 s0, s0, s21
	s_addc_u32 s1, 0, s1
	v_add_co_u32_e32 v1, vcc, s0, v1
	s_cmp_lg_u64 vcc, 0
	s_addc_u32 s0, s20, s1
	v_readfirstlane_b32 s20, v1
	s_mul_hi_u32 s1, s6, s0
	s_mul_i32 s0, s6, s0
	s_mul_hi_u32 s20, s6, s20
	s_add_u32 s0, s20, s0
	s_addc_u32 s1, 0, s1
	s_add_u32 s0, s0, 0
	s_addc_u32 s0, s1, 0
	s_addc_u32 s1, 0, 0
	s_add_u32 s20, s0, 0
	s_addc_u32 s21, 0, s1
	s_mul_i32 s0, s16, s21
	s_mul_hi_u32 s1, s16, s20
	s_add_i32 s0, s1, s0
	s_mul_i32 s1, s17, s20
	s_add_i32 s22, s0, s1
	s_mul_i32 s1, s16, s20
	v_mov_b32_e32 v1, s1
	s_sub_i32 s0, 0, s22
	v_sub_co_u32_e32 v1, vcc, s6, v1
	s_cmp_lg_u64 vcc, 0
	s_subb_u32 s23, s0, s17
	v_subrev_co_u32_e64 v2, s[0:1], s16, v1
	s_cmp_lg_u64 s[0:1], 0
	s_subb_u32 s0, s23, 0
	s_cmp_ge_u32 s0, s17
	v_readfirstlane_b32 s23, v2
	s_cselect_b32 s1, -1, 0
	s_cmp_ge_u32 s23, s16
	s_cselect_b32 s23, -1, 0
	s_cmp_eq_u32 s0, s17
	s_cselect_b32 s0, s23, s1
	s_add_u32 s1, s20, 1
	s_addc_u32 s23, s21, 0
	s_add_u32 s24, s20, 2
	s_addc_u32 s25, s21, 0
	s_cmp_lg_u32 s0, 0
	s_cselect_b32 s0, s24, s1
	s_cselect_b32 s1, s25, s23
	s_cmp_lg_u64 vcc, 0
	s_subb_u32 s22, 0, s22
	s_cmp_ge_u32 s22, s17
	v_readfirstlane_b32 s24, v1
	s_cselect_b32 s23, -1, 0
	s_cmp_ge_u32 s24, s16
	s_cselect_b32 s16, -1, 0
	s_cmp_eq_u32 s22, s17
	s_cselect_b32 s16, s16, s23
	s_cmp_lg_u32 s16, 0
	s_cselect_b32 s1, s1, s21
	s_cselect_b32 s0, s0, s20
	s_xor_b64 s[0:1], s[0:1], s[2:3]
	s_sub_u32 s16, s0, s2
	s_subb_u32 s17, s1, s2
	s_cbranch_execnz .LBB36_3
.LBB36_2:
	v_cvt_f32_u32_e32 v1, s7
	s_sub_i32 s0, 0, s7
	s_mov_b32 s17, 0
	v_rcp_iflag_f32_e32 v1, v1
	v_mul_f32_e32 v1, 0x4f7ffffe, v1
	v_cvt_u32_f32_e32 v1, v1
	v_readfirstlane_b32 s1, v1
	s_mul_i32 s0, s0, s1
	s_mul_hi_u32 s0, s1, s0
	s_add_i32 s1, s1, s0
	s_mul_hi_u32 s0, s6, s1
	s_mul_i32 s2, s0, s7
	s_sub_i32 s2, s6, s2
	s_add_i32 s1, s0, 1
	s_sub_i32 s3, s2, s7
	s_cmp_ge_u32 s2, s7
	s_cselect_b32 s0, s1, s0
	s_cselect_b32 s2, s3, s2
	s_add_i32 s1, s0, 1
	s_cmp_ge_u32 s2, s7
	s_cselect_b32 s16, s1, s0
.LBB36_3:
	s_mul_i32 s0, s16, s7
	s_load_dwordx2 s[2:3], s[4:5], 0x8
	s_sub_i32 s18, s6, s0
	s_ashr_i32 s19, s18, 31
	s_or_b64 s[0:1], s[18:19], s[14:15]
	s_mov_b32 s0, 0
	s_cmp_lg_u64 s[0:1], 0
	s_cbranch_scc0 .LBB36_37
; %bb.4:
	s_ashr_i32 s20, s15, 31
	s_add_u32 s0, s14, s20
	s_mov_b32 s21, s20
	s_addc_u32 s1, s15, s20
	s_xor_b64 s[24:25], s[0:1], s[20:21]
	v_cvt_f32_u32_e32 v1, s24
	v_cvt_f32_u32_e32 v2, s25
	s_sub_u32 s0, 0, s24
	s_subb_u32 s1, 0, s25
	v_madmk_f32 v1, v2, 0x4f800000, v1
	v_rcp_f32_e32 v1, v1
	v_mul_f32_e32 v1, 0x5f7ffffc, v1
	v_mul_f32_e32 v2, 0x2f800000, v1
	v_trunc_f32_e32 v2, v2
	v_madmk_f32 v1, v2, 0xcf800000, v1
	v_cvt_u32_f32_e32 v2, v2
	v_cvt_u32_f32_e32 v1, v1
	v_readfirstlane_b32 s7, v2
	v_readfirstlane_b32 s26, v1
	s_mul_i32 s27, s0, s7
	s_mul_hi_u32 s29, s0, s26
	s_mul_i32 s28, s1, s26
	s_add_i32 s27, s29, s27
	s_add_i32 s27, s27, s28
	s_mul_i32 s30, s0, s26
	s_mul_hi_u32 s28, s26, s27
	s_mul_i32 s29, s26, s27
	s_mul_hi_u32 s26, s26, s30
	s_add_u32 s26, s26, s29
	s_addc_u32 s28, 0, s28
	s_mul_hi_u32 s31, s7, s30
	s_mul_i32 s30, s7, s30
	s_add_u32 s26, s26, s30
	s_mul_hi_u32 s29, s7, s27
	s_addc_u32 s26, s28, s31
	s_addc_u32 s28, s29, 0
	s_mul_i32 s27, s7, s27
	s_add_u32 s26, s26, s27
	s_addc_u32 s27, 0, s28
	v_add_co_u32_e32 v1, vcc, s26, v1
	s_cmp_lg_u64 vcc, 0
	s_addc_u32 s7, s7, s27
	v_readfirstlane_b32 s27, v1
	s_mul_i32 s26, s0, s7
	s_mul_hi_u32 s28, s0, s27
	s_add_i32 s26, s28, s26
	s_mul_i32 s1, s1, s27
	s_add_i32 s26, s26, s1
	s_mul_i32 s0, s0, s27
	s_mul_hi_u32 s28, s7, s0
	s_mul_i32 s29, s7, s0
	s_mul_i32 s31, s27, s26
	s_mul_hi_u32 s0, s27, s0
	s_mul_hi_u32 s30, s27, s26
	s_add_u32 s0, s0, s31
	s_addc_u32 s27, 0, s30
	s_add_u32 s0, s0, s29
	s_mul_hi_u32 s1, s7, s26
	s_addc_u32 s0, s27, s28
	s_addc_u32 s1, s1, 0
	s_mul_i32 s26, s7, s26
	s_add_u32 s0, s0, s26
	s_addc_u32 s1, 0, s1
	v_add_co_u32_e32 v1, vcc, s0, v1
	s_cmp_lg_u64 vcc, 0
	s_addc_u32 s7, s7, s1
	s_add_u32 s0, s18, s19
	s_mov_b32 s26, s19
	s_mov_b32 s27, s19
	s_addc_u32 s1, s19, s19
	s_xor_b64 s[28:29], s[0:1], s[26:27]
	v_readfirstlane_b32 s30, v1
	s_mul_i32 s1, s28, s7
	s_mul_hi_u32 s31, s28, s30
	s_mul_hi_u32 s0, s28, s7
	s_add_u32 s1, s31, s1
	s_addc_u32 s0, 0, s0
	s_mul_hi_u32 s33, s29, s30
	s_mul_i32 s30, s29, s30
	s_add_u32 s1, s1, s30
	s_mul_hi_u32 s31, s29, s7
	s_addc_u32 s0, s0, s33
	s_addc_u32 s1, s31, 0
	s_mul_i32 s7, s29, s7
	s_add_u32 s7, s0, s7
	s_addc_u32 s30, 0, s1
	s_mul_i32 s0, s24, s30
	s_mul_hi_u32 s1, s24, s7
	s_add_i32 s0, s1, s0
	s_mul_i32 s1, s25, s7
	s_add_i32 s31, s0, s1
	s_mul_i32 s1, s24, s7
	v_mov_b32_e32 v1, s1
	s_sub_i32 s0, s29, s31
	v_sub_co_u32_e32 v1, vcc, s28, v1
	s_cmp_lg_u64 vcc, 0
	s_subb_u32 s28, s0, s25
	v_subrev_co_u32_e64 v2, s[0:1], s24, v1
	s_cmp_lg_u64 s[0:1], 0
	s_subb_u32 s0, s28, 0
	s_cmp_ge_u32 s0, s25
	v_readfirstlane_b32 s28, v2
	s_cselect_b32 s1, -1, 0
	s_cmp_ge_u32 s28, s24
	s_cselect_b32 s28, -1, 0
	s_cmp_eq_u32 s0, s25
	s_cselect_b32 s0, s28, s1
	s_add_u32 s1, s7, 1
	s_addc_u32 s28, s30, 0
	s_add_u32 s33, s7, 2
	s_addc_u32 s34, s30, 0
	s_cmp_lg_u32 s0, 0
	s_cselect_b32 s0, s33, s1
	s_cselect_b32 s1, s34, s28
	s_cmp_lg_u64 vcc, 0
	s_subb_u32 s28, s29, s31
	s_cmp_ge_u32 s28, s25
	v_readfirstlane_b32 s31, v1
	s_cselect_b32 s29, -1, 0
	s_cmp_ge_u32 s31, s24
	s_cselect_b32 s24, -1, 0
	s_cmp_eq_u32 s28, s25
	s_cselect_b32 s24, s24, s29
	s_cmp_lg_u32 s24, 0
	s_cselect_b32 s1, s1, s30
	s_cselect_b32 s0, s0, s7
	s_xor_b64 s[20:21], s[26:27], s[20:21]
	s_xor_b64 s[0:1], s[0:1], s[20:21]
	s_sub_u32 s0, s0, s20
	s_subb_u32 s1, s1, s21
	s_cbranch_execnz .LBB36_6
.LBB36_5:
	v_cvt_f32_u32_e32 v1, s14
	s_sub_i32 s0, 0, s14
	s_mov_b32 s1, 0
	v_rcp_iflag_f32_e32 v1, v1
	v_mul_f32_e32 v1, 0x4f7ffffe, v1
	v_cvt_u32_f32_e32 v1, v1
	v_readfirstlane_b32 s7, v1
	s_mul_i32 s0, s0, s7
	s_mul_hi_u32 s0, s7, s0
	s_add_i32 s7, s7, s0
	s_mul_hi_u32 s0, s18, s7
	s_mul_i32 s20, s0, s14
	s_sub_i32 s20, s18, s20
	s_add_i32 s7, s0, 1
	s_sub_i32 s21, s20, s14
	s_cmp_ge_u32 s20, s14
	s_cselect_b32 s0, s7, s0
	s_cselect_b32 s20, s21, s20
	s_add_i32 s7, s0, 1
	s_cmp_ge_u32 s20, s14
	s_cselect_b32 s0, s7, s0
.LBB36_6:
	s_mul_i32 s7, s0, s15
	s_mul_hi_u32 s15, s0, s14
	s_add_i32 s7, s15, s7
	s_mul_i32 s15, s1, s14
	s_add_i32 s7, s7, s15
	s_mul_i32 s14, s0, s14
	s_sub_u32 s20, s18, s14
	s_subb_u32 s7, s19, s7
	s_bfe_i64 s[14:15], s[16:17], 0x200000
	s_mul_i32 s13, s16, s13
	s_mul_hi_u32 s14, s16, s12
	s_add_i32 s13, s14, s13
	s_mul_i32 s14, s15, s12
	s_add_i32 s13, s13, s14
	s_bfe_i64 s[14:15], s[0:1], 0x200000
	s_mul_i32 s1, s0, s11
	s_mul_hi_u32 s11, s0, s10
	s_add_i32 s1, s11, s1
	s_mul_i32 s11, s15, s10
	s_add_i32 s1, s1, s11
	s_mul_i32 s0, s0, s10
	s_mul_i32 s12, s16, s12
	s_lshl_b64 s[10:11], s[0:1], 1
	s_mul_i32 s0, s20, s9
	s_mul_hi_u32 s1, s20, s8
	s_load_dword s18, s[4:5], 0x48
	s_load_dword s15, s[4:5], 0x5c
	s_lshl_b64 s[12:13], s[12:13], 1
	s_add_i32 s0, s1, s0
	s_mul_i32 s7, s7, s8
	s_waitcnt lgkmcnt(0)
	s_add_u32 s16, s2, s12
	s_add_i32 s1, s0, s7
	s_mul_i32 s0, s20, s8
	s_add_u32 s14, s16, s10
	s_lshl_b64 s[8:9], s[0:1], 1
	s_add_u32 s0, s14, s8
	s_and_b32 s7, s15, 0xffff
	s_and_b32 s14, s0, 15
	s_mov_b32 s15, 0
	s_cmp_lg_u64 s[14:15], 0
	s_cselect_b64 s[14:15], -1, 0
	s_and_b32 s1, s18, 7
	s_cmp_lg_u32 s1, 0
	s_cselect_b64 s[16:17], -1, 0
	s_or_b64 s[14:15], s[16:17], s[14:15]
	s_and_b64 vcc, exec, s[14:15]
	s_cbranch_vccz .LBB36_20
; %bb.7:
	s_sub_i32 s0, 0, s0
	s_bfe_u32 s0, s0, 0x30001
	s_min_i32 s0, s0, s18
	v_cmp_gt_i32_e32 vcc, s0, v0
	v_mov_b32_e32 v1, 0
	s_and_saveexec_b64 s[14:15], vcc
	s_cbranch_execz .LBB36_11
; %bb.8:
	s_add_u32 s1, s8, s12
	s_addc_u32 s16, s9, s13
	s_add_u32 s1, s1, s10
	s_addc_u32 s16, s16, s11
	s_add_u32 s1, s2, s1
	v_lshlrev_b32_e32 v1, 1, v0
	s_addc_u32 s16, s3, s16
	s_mov_b32 s19, 0
	v_mov_b32_e32 v3, s16
	v_add_co_u32_e32 v2, vcc, s1, v1
	v_addc_co_u32_e32 v3, vcc, 0, v3, vcc
	s_lshl_b32 s1, s7, 1
	s_mov_b64 s[16:17], 0
	v_mov_b32_e32 v1, 0
	v_mov_b32_e32 v4, s19
	;; [unrolled: 1-line block ×3, first 2 shown]
.LBB36_9:                               ; =>This Inner Loop Header: Depth=1
	global_load_ushort v6, v[2:3], off
	v_add_co_u32_e32 v2, vcc, s1, v2
	v_add_u32_e32 v5, s7, v5
	v_addc_co_u32_e32 v3, vcc, v3, v4, vcc
	v_cmp_le_i32_e32 vcc, s0, v5
	s_or_b64 s[16:17], vcc, s[16:17]
	s_waitcnt vmcnt(0)
	v_fma_mix_f32 v1, v6, v6, v1 op_sel_hi:[1,1,0]
	s_andn2_b64 exec, exec, s[16:17]
	s_cbranch_execnz .LBB36_9
; %bb.10:
	s_or_b64 exec, exec, s[16:17]
.LBB36_11:
	s_or_b64 exec, exec, s[14:15]
	s_sub_i32 s19, s18, s0
	s_ashr_i32 s14, s19, 31
	s_lshr_b32 s14, s14, 29
	s_add_i32 s14, s19, s14
	s_ashr_i32 s20, s14, 3
	s_ashr_i32 s1, s0, 31
	v_cmp_gt_i32_e32 vcc, s20, v0
	s_and_saveexec_b64 s[14:15], vcc
	s_cbranch_execz .LBB36_15
; %bb.12:
	s_add_u32 s16, s8, s12
	s_addc_u32 s17, s9, s13
	s_add_u32 s21, s16, s10
	s_addc_u32 s22, s17, s11
	s_lshl_b64 s[16:17], s[0:1], 1
	s_add_u32 s16, s2, s16
	s_addc_u32 s17, s3, s17
	s_add_u32 s16, s16, s21
	v_lshlrev_b32_e32 v2, 4, v0
	s_addc_u32 s17, s17, s22
	s_mov_b32 s23, 0
	v_mov_b32_e32 v3, s17
	v_add_co_u32_e32 v2, vcc, s16, v2
	v_addc_co_u32_e32 v3, vcc, 0, v3, vcc
	s_lshl_b32 s21, s7, 4
	s_mov_b64 s[16:17], 0
	v_mov_b32_e32 v4, s23
	v_mov_b32_e32 v5, v0
.LBB36_13:                              ; =>This Inner Loop Header: Depth=1
	global_load_dwordx4 v[6:9], v[2:3], off
	v_add_co_u32_e32 v2, vcc, s21, v2
	v_add_u32_e32 v5, s7, v5
	v_addc_co_u32_e32 v3, vcc, v3, v4, vcc
	v_cmp_le_i32_e32 vcc, s20, v5
	s_or_b64 s[16:17], vcc, s[16:17]
	s_waitcnt vmcnt(0)
	v_fma_mix_f32 v1, v6, v6, v1 op_sel_hi:[1,1,0]
	v_fma_mix_f32 v1, v6, v6, v1 op_sel:[1,1,0] op_sel_hi:[1,1,0]
	v_fma_mix_f32 v1, v7, v7, v1 op_sel_hi:[1,1,0]
	v_fma_mix_f32 v1, v7, v7, v1 op_sel:[1,1,0] op_sel_hi:[1,1,0]
	;; [unrolled: 2-line block ×4, first 2 shown]
	s_andn2_b64 exec, exec, s[16:17]
	s_cbranch_execnz .LBB36_13
; %bb.14:
	s_or_b64 exec, exec, s[16:17]
.LBB36_15:
	s_or_b64 exec, exec, s[14:15]
	v_lshl_add_u32 v2, s20, 3, v0
	v_cmp_gt_i32_e32 vcc, s19, v2
	s_and_saveexec_b64 s[14:15], vcc
	s_cbranch_execz .LBB36_19
; %bb.16:
	s_add_u32 s16, s8, s12
	s_addc_u32 s17, s9, s13
	s_add_u32 s16, s16, s10
	s_addc_u32 s17, s17, s11
	s_lshl_b64 s[0:1], s[0:1], 1
	s_add_u32 s0, s16, s0
	s_addc_u32 s1, s17, s1
	v_ashrrev_i32_e32 v3, 31, v2
	s_add_u32 s0, s2, s0
	v_lshlrev_b64 v[4:5], 1, v[2:3]
	s_addc_u32 s1, s3, s1
	v_mov_b32_e32 v3, s1
	v_add_co_u32_e32 v4, vcc, s0, v4
	s_mov_b32 s17, 0
	v_addc_co_u32_e32 v5, vcc, v3, v5, vcc
	s_lshl_b32 s16, s7, 1
	s_mov_b64 s[0:1], 0
	v_mov_b32_e32 v3, s17
.LBB36_17:                              ; =>This Inner Loop Header: Depth=1
	global_load_ushort v6, v[4:5], off
	v_add_co_u32_e32 v4, vcc, s16, v4
	v_add_u32_e32 v2, s7, v2
	v_addc_co_u32_e32 v5, vcc, v5, v3, vcc
	v_cmp_le_i32_e32 vcc, s19, v2
	s_or_b64 s[0:1], vcc, s[0:1]
	s_waitcnt vmcnt(0)
	v_fma_mix_f32 v1, v6, v6, v1 op_sel_hi:[1,1,0]
	s_andn2_b64 exec, exec, s[0:1]
	s_cbranch_execnz .LBB36_17
; %bb.18:
	s_or_b64 exec, exec, s[0:1]
.LBB36_19:
	s_or_b64 exec, exec, s[14:15]
	s_branch .LBB36_26
.LBB36_20:
                                        ; implicit-def: $vgpr1
	s_cbranch_execz .LBB36_26
; %bb.21:
	s_ashr_i32 s16, s18, 3
	v_cmp_gt_i32_e32 vcc, s16, v0
	v_mov_b32_e32 v1, 0
	s_and_saveexec_b64 s[0:1], vcc
	s_cbranch_execz .LBB36_25
; %bb.22:
	s_add_u32 s14, s8, s12
	s_addc_u32 s15, s9, s13
	s_add_u32 s14, s14, s10
	s_addc_u32 s15, s15, s11
	s_add_u32 s14, s2, s14
	v_lshlrev_b32_e32 v1, 4, v0
	s_addc_u32 s15, s3, s15
	s_mov_b32 s19, 0
	v_mov_b32_e32 v3, s15
	v_add_co_u32_e32 v2, vcc, s14, v1
	v_addc_co_u32_e32 v3, vcc, 0, v3, vcc
	s_lshl_b32 s17, s7, 4
	s_mov_b64 s[14:15], 0
	v_mov_b32_e32 v1, 0
	v_mov_b32_e32 v4, s19
	v_mov_b32_e32 v5, v0
.LBB36_23:                              ; =>This Inner Loop Header: Depth=1
	global_load_dwordx4 v[6:9], v[2:3], off
	v_add_co_u32_e32 v2, vcc, s17, v2
	v_add_u32_e32 v5, s7, v5
	v_addc_co_u32_e32 v3, vcc, v3, v4, vcc
	v_cmp_le_i32_e32 vcc, s16, v5
	s_or_b64 s[14:15], vcc, s[14:15]
	s_waitcnt vmcnt(0)
	v_fma_mix_f32 v1, v6, v6, v1 op_sel_hi:[1,1,0]
	v_fma_mix_f32 v1, v6, v6, v1 op_sel:[1,1,0] op_sel_hi:[1,1,0]
	v_fma_mix_f32 v1, v7, v7, v1 op_sel_hi:[1,1,0]
	v_fma_mix_f32 v1, v7, v7, v1 op_sel:[1,1,0] op_sel_hi:[1,1,0]
	;; [unrolled: 2-line block ×4, first 2 shown]
	s_andn2_b64 exec, exec, s[14:15]
	s_cbranch_execnz .LBB36_23
; %bb.24:
	s_or_b64 exec, exec, s[14:15]
.LBB36_25:
	s_or_b64 exec, exec, s[0:1]
.LBB36_26:
	v_mbcnt_lo_u32_b32 v2, -1, 0
	v_mbcnt_hi_u32_b32 v2, -1, v2
	v_and_b32_e32 v3, 63, v2
	v_cmp_ne_u32_e32 vcc, 63, v3
	v_addc_co_u32_e32 v4, vcc, 0, v2, vcc
	v_lshlrev_b32_e32 v4, 2, v4
	ds_bpermute_b32 v4, v4, v1
	v_and_b32_e32 v5, 0x3c0, v0
	v_sub_u32_e64 v5, s7, v5 clamp
	v_add_u32_e32 v6, 1, v2
	v_cmp_lt_u32_e32 vcc, v6, v5
	s_waitcnt lgkmcnt(0)
	v_add_f32_e32 v4, v1, v4
	v_cndmask_b32_e32 v1, v1, v4, vcc
	v_cmp_gt_u32_e32 vcc, 62, v3
	v_cndmask_b32_e64 v4, 0, 1, vcc
	v_lshlrev_b32_e32 v4, 1, v4
	v_add_lshl_u32 v4, v4, v2, 2
	ds_bpermute_b32 v4, v4, v1
	v_add_u32_e32 v6, 2, v2
	v_cmp_lt_u32_e32 vcc, v6, v5
	v_add_u32_e32 v6, 4, v2
	s_waitcnt lgkmcnt(0)
	v_add_f32_e32 v4, v1, v4
	v_cndmask_b32_e32 v1, v1, v4, vcc
	v_cmp_gt_u32_e32 vcc, 60, v3
	v_cndmask_b32_e64 v4, 0, 1, vcc
	v_lshlrev_b32_e32 v4, 2, v4
	v_add_lshl_u32 v4, v4, v2, 2
	ds_bpermute_b32 v4, v4, v1
	v_cmp_lt_u32_e32 vcc, v6, v5
	v_add_u32_e32 v6, 8, v2
	s_waitcnt lgkmcnt(0)
	v_add_f32_e32 v4, v1, v4
	v_cndmask_b32_e32 v1, v1, v4, vcc
	v_cmp_gt_u32_e32 vcc, 56, v3
	v_cndmask_b32_e64 v4, 0, 1, vcc
	v_lshlrev_b32_e32 v4, 3, v4
	v_add_lshl_u32 v4, v4, v2, 2
	ds_bpermute_b32 v4, v4, v1
	;; [unrolled: 10-line block ×3, first 2 shown]
	v_cmp_lt_u32_e32 vcc, v6, v5
	s_waitcnt lgkmcnt(0)
	v_add_f32_e32 v4, v1, v4
	v_cndmask_b32_e32 v1, v1, v4, vcc
	v_cmp_gt_u32_e32 vcc, 32, v3
	v_cndmask_b32_e64 v3, 0, 1, vcc
	v_lshlrev_b32_e32 v3, 5, v3
	v_add_lshl_u32 v3, v3, v2, 2
	ds_bpermute_b32 v3, v3, v1
	v_add_u32_e32 v4, 32, v2
	v_cmp_lt_u32_e32 vcc, v4, v5
	s_waitcnt lgkmcnt(0)
	v_add_f32_e32 v3, v1, v3
	v_cndmask_b32_e32 v1, v1, v3, vcc
	v_cmp_eq_u32_e32 vcc, 0, v2
	s_and_saveexec_b64 s[0:1], vcc
	s_cbranch_execz .LBB36_28
; %bb.27:
	v_lshrrev_b32_e32 v3, 4, v0
	v_and_b32_e32 v3, 60, v3
	ds_write_b32 v3, v1
.LBB36_28:
	s_or_b64 exec, exec, s[0:1]
	v_cmp_gt_u32_e32 vcc, 16, v0
	s_waitcnt lgkmcnt(0)
	s_barrier
	s_and_saveexec_b64 s[14:15], vcc
	s_cbranch_execz .LBB36_30
; %bb.29:
	v_lshlrev_b32_e32 v1, 2, v2
	ds_read_b32 v1, v1
	v_and_b32_e32 v3, 15, v2
	v_cmp_ne_u32_e32 vcc, 15, v3
	v_addc_co_u32_e32 v4, vcc, 0, v2, vcc
	v_lshlrev_b32_e32 v4, 2, v4
	s_waitcnt lgkmcnt(0)
	ds_bpermute_b32 v4, v4, v1
	s_add_i32 s0, s7, 63
	s_lshr_b32 s16, s0, 6
	v_add_u32_e32 v5, 1, v3
	v_cmp_gt_u32_e64 s[0:1], 14, v3
	v_cmp_gt_u32_e32 vcc, s16, v5
	v_cndmask_b32_e64 v5, 0, 1, s[0:1]
	s_waitcnt lgkmcnt(0)
	v_add_f32_e32 v4, v1, v4
	v_lshlrev_b32_e32 v5, 1, v5
	v_cndmask_b32_e32 v4, v1, v4, vcc
	v_add_lshl_u32 v5, v5, v2, 2
	ds_bpermute_b32 v5, v5, v4
	v_add_u32_e32 v6, 2, v3
	v_cmp_gt_u32_e64 s[0:1], s16, v6
	v_add_u32_e32 v6, 4, v3
	s_waitcnt lgkmcnt(0)
	v_add_f32_e32 v5, v4, v5
	v_cndmask_b32_e64 v4, v4, v5, s[0:1]
	v_cmp_gt_u32_e64 s[0:1], 12, v3
	v_cndmask_b32_e64 v5, 0, 1, s[0:1]
	v_lshlrev_b32_e32 v5, 2, v5
	v_add_lshl_u32 v5, v5, v2, 2
	ds_bpermute_b32 v5, v5, v4
	v_cmp_gt_u32_e64 s[0:1], s16, v6
	s_waitcnt lgkmcnt(0)
	v_add_f32_e32 v5, v4, v5
	v_cndmask_b32_e64 v4, v4, v5, s[0:1]
	v_cmp_gt_u32_e64 s[0:1], 8, v3
	v_cndmask_b32_e64 v5, 0, 1, s[0:1]
	v_lshlrev_b32_e32 v5, 3, v5
	v_add_lshl_u32 v2, v5, v2, 2
	ds_bpermute_b32 v2, v2, v4
	v_add_u32_e32 v3, 8, v3
	v_cmp_gt_u32_e64 s[0:1], s16, v3
	s_waitcnt lgkmcnt(0)
	v_add_f32_e32 v2, v4, v2
	v_cndmask_b32_e64 v2, v4, v2, s[0:1]
	v_cndmask_b32_e32 v1, v1, v2, vcc
.LBB36_30:
	s_or_b64 exec, exec, s[14:15]
	v_cmp_eq_u32_e32 vcc, 0, v0
	s_and_saveexec_b64 s[0:1], vcc
	s_cbranch_execz .LBB36_32
; %bb.31:
	v_cvt_f32_i32_e32 v2, s18
	s_load_dword s16, s[4:5], 0x40
	v_div_scale_f32 v3, s[14:15], v2, v2, v1
	v_rcp_f32_e32 v4, v3
	v_div_scale_f32 v5, vcc, v1, v2, v1
	s_mov_b32 s14, 0x800000
	v_fma_f32 v6, -v3, v4, 1.0
	v_fmac_f32_e32 v4, v6, v4
	v_mul_f32_e32 v6, v5, v4
	v_fma_f32 v7, -v3, v6, v5
	v_fmac_f32_e32 v6, v7, v4
	v_fma_f32 v3, -v3, v6, v5
	v_div_fmas_f32 v3, v3, v4, v6
	v_div_fixup_f32 v1, v3, v2, v1
	s_waitcnt lgkmcnt(0)
	v_add_f32_e32 v1, s16, v1
	v_mul_f32_e32 v2, 0x4b800000, v1
	v_cmp_gt_f32_e32 vcc, s14, v1
	v_cndmask_b32_e32 v1, v1, v2, vcc
	v_rsq_f32_e32 v1, v1
	v_mul_f32_e32 v2, 0x45800000, v1
	v_cndmask_b32_e32 v1, v1, v2, vcc
	v_mov_b32_e32 v2, 0
	ds_write_b32 v2, v1 offset:64
.LBB36_32:
	s_or_b64 exec, exec, s[0:1]
	s_ashr_i32 s0, s18, 31
	s_lshr_b32 s0, s0, 29
	s_add_i32 s0, s18, s0
	s_ashr_i32 s14, s0, 3
	v_cmp_gt_i32_e32 vcc, s14, v0
	s_waitcnt lgkmcnt(0)
	s_barrier
	s_and_saveexec_b64 s[0:1], vcc
	s_cbranch_execz .LBB36_35
; %bb.33:
	v_mov_b32_e32 v1, 0
	ds_read_b32 v2, v1 offset:64
	s_load_dwordx2 s[0:1], s[4:5], 0x0
	s_load_dwordx2 s[16:17], s[4:5], 0x38
	s_mul_i32 s4, s6, s18
	s_mov_b32 s5, 0
	s_lshl_b64 s[4:5], s[4:5], 1
	s_waitcnt lgkmcnt(0)
	s_add_u32 s0, s0, s4
	v_lshlrev_b32_e32 v4, 4, v0
	s_addc_u32 s1, s1, s5
	s_lshl_b32 s4, s7, 4
	v_add_co_u32_e32 v1, vcc, s0, v4
	s_add_u32 s0, s8, s12
	v_mov_b32_e32 v5, s1
	s_addc_u32 s1, s9, s13
	s_add_u32 s0, s0, s10
	s_addc_u32 s1, s1, s11
	s_add_u32 s0, s2, s0
	v_addc_co_u32_e32 v6, vcc, 0, v5, vcc
	s_addc_u32 s1, s3, s1
	v_mov_b32_e32 v5, s1
	v_add_co_u32_e32 v7, vcc, s0, v4
	v_addc_co_u32_e32 v5, vcc, 0, v5, vcc
	v_add_co_u32_e32 v7, vcc, 8, v7
	v_addc_co_u32_e32 v8, vcc, 0, v5, vcc
	v_mov_b32_e32 v5, s17
	v_add_co_u32_e32 v4, vcc, s16, v4
	v_addc_co_u32_e32 v5, vcc, 0, v5, vcc
	v_add_co_u32_e32 v9, vcc, 8, v4
	v_mov_b32_e32 v3, v2
	v_addc_co_u32_e32 v10, vcc, 0, v5, vcc
	s_mov_b64 s[0:1], 0
	v_mov_b32_e32 v4, v2
	v_mov_b32_e32 v5, v2
	s_mov_b64 s[2:3], 0
.LBB36_34:                              ; =>This Inner Loop Header: Depth=1
	v_mov_b32_e32 v11, s3
	v_add_co_u32_e32 v12, vcc, s2, v7
	v_addc_co_u32_e32 v13, vcc, v8, v11, vcc
	global_load_dwordx4 v[12:15], v[12:13], off offset:-8
	v_add_co_u32_e32 v16, vcc, s2, v9
	v_addc_co_u32_e32 v17, vcc, v10, v11, vcc
	global_load_dwordx4 v[16:19], v[16:17], off offset:-8
	v_add_co_u32_e32 v20, vcc, s2, v1
	v_addc_co_u32_e32 v21, vcc, v6, v11, vcc
	v_add_u32_e32 v0, s7, v0
	s_add_u32 s2, s2, s4
	s_addc_u32 s3, s3, 0
	v_cmp_le_i32_e32 vcc, s14, v0
	s_or_b64 s[0:1], vcc, s[0:1]
	s_waitcnt vmcnt(1)
	v_cvt_f32_f16_e32 v22, v12
	v_cvt_f32_f16_sdwa v23, v12 dst_sel:DWORD dst_unused:UNUSED_PAD src0_sel:WORD_1
	v_cvt_f32_f16_e32 v12, v13
	v_cvt_f32_f16_sdwa v13, v13 dst_sel:DWORD dst_unused:UNUSED_PAD src0_sel:WORD_1
	v_cvt_f32_f16_e32 v24, v14
	v_cvt_f32_f16_e32 v26, v15
	v_cvt_f32_f16_sdwa v27, v15 dst_sel:DWORD dst_unused:UNUSED_PAD src0_sel:WORD_1
	v_cvt_f32_f16_sdwa v25, v14 dst_sel:DWORD dst_unused:UNUSED_PAD src0_sel:WORD_1
	v_pk_mul_f32 v[12:13], v[4:5], v[12:13]
	v_pk_mul_f32 v[14:15], v[2:3], v[22:23]
	;; [unrolled: 1-line block ×4, first 2 shown]
	v_cvt_f16_f32_e32 v11, v15
	v_cvt_f16_f32_e32 v14, v14
	;; [unrolled: 1-line block ×8, first 2 shown]
	v_pack_b32_f16 v12, v12, v13
	v_pack_b32_f16 v11, v14, v11
	v_pack_b32_f16 v14, v22, v23
	v_pack_b32_f16 v22, v24, v15
	s_waitcnt vmcnt(0)
	v_pk_mul_f16 v13, v17, v12
	v_pk_mul_f16 v12, v16, v11
	;; [unrolled: 1-line block ×4, first 2 shown]
	global_store_dwordx4 v[20:21], v[12:15], off
	s_andn2_b64 exec, exec, s[0:1]
	s_cbranch_execnz .LBB36_34
.LBB36_35:
	s_endpgm
.LBB36_36:
                                        ; implicit-def: $sgpr16_sgpr17
	s_branch .LBB36_2
.LBB36_37:
                                        ; implicit-def: $sgpr0_sgpr1
	s_branch .LBB36_5
	.section	.rodata,"a",@progbits
	.p2align	6, 0x0
	.amdhsa_kernel _ZN4vllm15rms_norm_kernelIN3c104HalfELi8ELi4EEEvPT_PKS3_lllllS6_fii
		.amdhsa_group_segment_fixed_size 68
		.amdhsa_private_segment_fixed_size 0
		.amdhsa_kernarg_size 336
		.amdhsa_user_sgpr_count 6
		.amdhsa_user_sgpr_private_segment_buffer 1
		.amdhsa_user_sgpr_dispatch_ptr 0
		.amdhsa_user_sgpr_queue_ptr 0
		.amdhsa_user_sgpr_kernarg_segment_ptr 1
		.amdhsa_user_sgpr_dispatch_id 0
		.amdhsa_user_sgpr_flat_scratch_init 0
		.amdhsa_user_sgpr_kernarg_preload_length 0
		.amdhsa_user_sgpr_kernarg_preload_offset 0
		.amdhsa_user_sgpr_private_segment_size 0
		.amdhsa_uses_dynamic_stack 0
		.amdhsa_system_sgpr_private_segment_wavefront_offset 0
		.amdhsa_system_sgpr_workgroup_id_x 1
		.amdhsa_system_sgpr_workgroup_id_y 0
		.amdhsa_system_sgpr_workgroup_id_z 0
		.amdhsa_system_sgpr_workgroup_info 0
		.amdhsa_system_vgpr_workitem_id 0
		.amdhsa_next_free_vgpr 28
		.amdhsa_next_free_sgpr 35
		.amdhsa_accum_offset 28
		.amdhsa_reserve_vcc 1
		.amdhsa_reserve_flat_scratch 0
		.amdhsa_float_round_mode_32 0
		.amdhsa_float_round_mode_16_64 0
		.amdhsa_float_denorm_mode_32 3
		.amdhsa_float_denorm_mode_16_64 3
		.amdhsa_dx10_clamp 1
		.amdhsa_ieee_mode 1
		.amdhsa_fp16_overflow 0
		.amdhsa_tg_split 0
		.amdhsa_exception_fp_ieee_invalid_op 0
		.amdhsa_exception_fp_denorm_src 0
		.amdhsa_exception_fp_ieee_div_zero 0
		.amdhsa_exception_fp_ieee_overflow 0
		.amdhsa_exception_fp_ieee_underflow 0
		.amdhsa_exception_fp_ieee_inexact 0
		.amdhsa_exception_int_div_zero 0
	.end_amdhsa_kernel
	.section	.text._ZN4vllm15rms_norm_kernelIN3c104HalfELi8ELi4EEEvPT_PKS3_lllllS6_fii,"axG",@progbits,_ZN4vllm15rms_norm_kernelIN3c104HalfELi8ELi4EEEvPT_PKS3_lllllS6_fii,comdat
.Lfunc_end36:
	.size	_ZN4vllm15rms_norm_kernelIN3c104HalfELi8ELi4EEEvPT_PKS3_lllllS6_fii, .Lfunc_end36-_ZN4vllm15rms_norm_kernelIN3c104HalfELi8ELi4EEEvPT_PKS3_lllllS6_fii
                                        ; -- End function
	.section	.AMDGPU.csdata,"",@progbits
; Kernel info:
; codeLenInByte = 3556
; NumSgprs: 39
; NumVgprs: 28
; NumAgprs: 0
; TotalNumVgprs: 28
; ScratchSize: 0
; MemoryBound: 0
; FloatMode: 240
; IeeeMode: 1
; LDSByteSize: 68 bytes/workgroup (compile time only)
; SGPRBlocks: 4
; VGPRBlocks: 3
; NumSGPRsForWavesPerEU: 39
; NumVGPRsForWavesPerEU: 28
; AccumOffset: 28
; Occupancy: 8
; WaveLimiterHint : 0
; COMPUTE_PGM_RSRC2:SCRATCH_EN: 0
; COMPUTE_PGM_RSRC2:USER_SGPR: 6
; COMPUTE_PGM_RSRC2:TRAP_HANDLER: 0
; COMPUTE_PGM_RSRC2:TGID_X_EN: 1
; COMPUTE_PGM_RSRC2:TGID_Y_EN: 0
; COMPUTE_PGM_RSRC2:TGID_Z_EN: 0
; COMPUTE_PGM_RSRC2:TIDIG_COMP_CNT: 0
; COMPUTE_PGM_RSRC3_GFX90A:ACCUM_OFFSET: 6
; COMPUTE_PGM_RSRC3_GFX90A:TG_SPLIT: 0
	.section	.text._ZN4vllm15rms_norm_kernelIN3c104HalfELi4ELi4EEEvPT_PKS3_lllllS6_fii,"axG",@progbits,_ZN4vllm15rms_norm_kernelIN3c104HalfELi4ELi4EEEvPT_PKS3_lllllS6_fii,comdat
	.protected	_ZN4vllm15rms_norm_kernelIN3c104HalfELi4ELi4EEEvPT_PKS3_lllllS6_fii ; -- Begin function _ZN4vllm15rms_norm_kernelIN3c104HalfELi4ELi4EEEvPT_PKS3_lllllS6_fii
	.globl	_ZN4vllm15rms_norm_kernelIN3c104HalfELi4ELi4EEEvPT_PKS3_lllllS6_fii
	.p2align	8
	.type	_ZN4vllm15rms_norm_kernelIN3c104HalfELi4ELi4EEEvPT_PKS3_lllllS6_fii,@function
_ZN4vllm15rms_norm_kernelIN3c104HalfELi4ELi4EEEvPT_PKS3_lllllS6_fii: ; @_ZN4vllm15rms_norm_kernelIN3c104HalfELi4ELi4EEEvPT_PKS3_lllllS6_fii
; %bb.0:
	s_load_dwordx8 s[8:15], s[4:5], 0x10
	s_load_dwordx2 s[2:3], s[4:5], 0x30
	s_mov_b32 s0, 0
	s_waitcnt lgkmcnt(0)
	s_mul_i32 s1, s2, s15
	s_mul_hi_u32 s7, s2, s14
	s_add_i32 s1, s7, s1
	s_mul_i32 s3, s3, s14
	s_add_i32 s1, s1, s3
	s_cmp_lg_u64 s[0:1], 0
	s_mul_i32 s7, s2, s14
	s_cbranch_scc0 .LBB37_36
; %bb.1:
	s_ashr_i32 s2, s1, 31
	s_add_u32 s0, s7, s2
	s_mov_b32 s3, s2
	s_addc_u32 s1, s1, s2
	s_xor_b64 s[16:17], s[0:1], s[2:3]
	v_cvt_f32_u32_e32 v1, s16
	v_cvt_f32_u32_e32 v2, s17
	s_sub_u32 s0, 0, s16
	s_subb_u32 s1, 0, s17
	v_madmk_f32 v1, v2, 0x4f800000, v1
	v_rcp_f32_e32 v1, v1
	v_mul_f32_e32 v1, 0x5f7ffffc, v1
	v_mul_f32_e32 v2, 0x2f800000, v1
	v_trunc_f32_e32 v2, v2
	v_madmk_f32 v1, v2, 0xcf800000, v1
	v_cvt_u32_f32_e32 v2, v2
	v_cvt_u32_f32_e32 v1, v1
	v_readfirstlane_b32 s20, v2
	v_readfirstlane_b32 s21, v1
	s_mul_i32 s22, s0, s20
	s_mul_hi_u32 s24, s0, s21
	s_mul_i32 s23, s1, s21
	s_add_i32 s22, s24, s22
	s_add_i32 s22, s22, s23
	s_mul_i32 s25, s0, s21
	s_mul_hi_u32 s23, s21, s22
	s_mul_i32 s24, s21, s22
	s_mul_hi_u32 s21, s21, s25
	s_add_u32 s21, s21, s24
	s_addc_u32 s23, 0, s23
	s_mul_hi_u32 s26, s20, s25
	s_mul_i32 s25, s20, s25
	s_add_u32 s21, s21, s25
	s_mul_hi_u32 s24, s20, s22
	s_addc_u32 s21, s23, s26
	s_addc_u32 s23, s24, 0
	s_mul_i32 s22, s20, s22
	s_add_u32 s21, s21, s22
	s_addc_u32 s22, 0, s23
	v_add_co_u32_e32 v1, vcc, s21, v1
	s_cmp_lg_u64 vcc, 0
	s_addc_u32 s20, s20, s22
	v_readfirstlane_b32 s22, v1
	s_mul_i32 s21, s0, s20
	s_mul_hi_u32 s23, s0, s22
	s_add_i32 s21, s23, s21
	s_mul_i32 s1, s1, s22
	s_add_i32 s21, s21, s1
	s_mul_i32 s0, s0, s22
	s_mul_hi_u32 s23, s20, s0
	s_mul_i32 s24, s20, s0
	s_mul_i32 s26, s22, s21
	s_mul_hi_u32 s0, s22, s0
	s_mul_hi_u32 s25, s22, s21
	s_add_u32 s0, s0, s26
	s_addc_u32 s22, 0, s25
	s_add_u32 s0, s0, s24
	s_mul_hi_u32 s1, s20, s21
	s_addc_u32 s0, s22, s23
	s_addc_u32 s1, s1, 0
	s_mul_i32 s21, s20, s21
	s_add_u32 s0, s0, s21
	s_addc_u32 s1, 0, s1
	v_add_co_u32_e32 v1, vcc, s0, v1
	s_cmp_lg_u64 vcc, 0
	s_addc_u32 s0, s20, s1
	v_readfirstlane_b32 s20, v1
	s_mul_hi_u32 s1, s6, s0
	s_mul_i32 s0, s6, s0
	s_mul_hi_u32 s20, s6, s20
	s_add_u32 s0, s20, s0
	s_addc_u32 s1, 0, s1
	s_add_u32 s0, s0, 0
	s_addc_u32 s0, s1, 0
	s_addc_u32 s1, 0, 0
	s_add_u32 s20, s0, 0
	s_addc_u32 s21, 0, s1
	s_mul_i32 s0, s16, s21
	s_mul_hi_u32 s1, s16, s20
	s_add_i32 s0, s1, s0
	s_mul_i32 s1, s17, s20
	s_add_i32 s22, s0, s1
	s_mul_i32 s1, s16, s20
	v_mov_b32_e32 v1, s1
	s_sub_i32 s0, 0, s22
	v_sub_co_u32_e32 v1, vcc, s6, v1
	s_cmp_lg_u64 vcc, 0
	s_subb_u32 s23, s0, s17
	v_subrev_co_u32_e64 v2, s[0:1], s16, v1
	s_cmp_lg_u64 s[0:1], 0
	s_subb_u32 s0, s23, 0
	s_cmp_ge_u32 s0, s17
	v_readfirstlane_b32 s23, v2
	s_cselect_b32 s1, -1, 0
	s_cmp_ge_u32 s23, s16
	s_cselect_b32 s23, -1, 0
	s_cmp_eq_u32 s0, s17
	s_cselect_b32 s0, s23, s1
	s_add_u32 s1, s20, 1
	s_addc_u32 s23, s21, 0
	s_add_u32 s24, s20, 2
	s_addc_u32 s25, s21, 0
	s_cmp_lg_u32 s0, 0
	s_cselect_b32 s0, s24, s1
	s_cselect_b32 s1, s25, s23
	s_cmp_lg_u64 vcc, 0
	s_subb_u32 s22, 0, s22
	s_cmp_ge_u32 s22, s17
	v_readfirstlane_b32 s24, v1
	s_cselect_b32 s23, -1, 0
	s_cmp_ge_u32 s24, s16
	s_cselect_b32 s16, -1, 0
	s_cmp_eq_u32 s22, s17
	s_cselect_b32 s16, s16, s23
	s_cmp_lg_u32 s16, 0
	s_cselect_b32 s1, s1, s21
	s_cselect_b32 s0, s0, s20
	s_xor_b64 s[0:1], s[0:1], s[2:3]
	s_sub_u32 s16, s0, s2
	s_subb_u32 s17, s1, s2
	s_cbranch_execnz .LBB37_3
.LBB37_2:
	v_cvt_f32_u32_e32 v1, s7
	s_sub_i32 s0, 0, s7
	s_mov_b32 s17, 0
	v_rcp_iflag_f32_e32 v1, v1
	v_mul_f32_e32 v1, 0x4f7ffffe, v1
	v_cvt_u32_f32_e32 v1, v1
	v_readfirstlane_b32 s1, v1
	s_mul_i32 s0, s0, s1
	s_mul_hi_u32 s0, s1, s0
	s_add_i32 s1, s1, s0
	s_mul_hi_u32 s0, s6, s1
	s_mul_i32 s2, s0, s7
	s_sub_i32 s2, s6, s2
	s_add_i32 s1, s0, 1
	s_sub_i32 s3, s2, s7
	s_cmp_ge_u32 s2, s7
	s_cselect_b32 s0, s1, s0
	s_cselect_b32 s2, s3, s2
	s_add_i32 s1, s0, 1
	s_cmp_ge_u32 s2, s7
	s_cselect_b32 s16, s1, s0
.LBB37_3:
	s_mul_i32 s0, s16, s7
	s_load_dwordx2 s[2:3], s[4:5], 0x8
	s_sub_i32 s18, s6, s0
	s_ashr_i32 s19, s18, 31
	s_or_b64 s[0:1], s[18:19], s[14:15]
	s_mov_b32 s0, 0
	s_cmp_lg_u64 s[0:1], 0
	s_cbranch_scc0 .LBB37_37
; %bb.4:
	s_ashr_i32 s20, s15, 31
	s_add_u32 s0, s14, s20
	s_mov_b32 s21, s20
	s_addc_u32 s1, s15, s20
	s_xor_b64 s[24:25], s[0:1], s[20:21]
	v_cvt_f32_u32_e32 v1, s24
	v_cvt_f32_u32_e32 v2, s25
	s_sub_u32 s0, 0, s24
	s_subb_u32 s1, 0, s25
	v_madmk_f32 v1, v2, 0x4f800000, v1
	v_rcp_f32_e32 v1, v1
	v_mul_f32_e32 v1, 0x5f7ffffc, v1
	v_mul_f32_e32 v2, 0x2f800000, v1
	v_trunc_f32_e32 v2, v2
	v_madmk_f32 v1, v2, 0xcf800000, v1
	v_cvt_u32_f32_e32 v2, v2
	v_cvt_u32_f32_e32 v1, v1
	v_readfirstlane_b32 s7, v2
	v_readfirstlane_b32 s26, v1
	s_mul_i32 s27, s0, s7
	s_mul_hi_u32 s29, s0, s26
	s_mul_i32 s28, s1, s26
	s_add_i32 s27, s29, s27
	s_add_i32 s27, s27, s28
	s_mul_i32 s30, s0, s26
	s_mul_hi_u32 s28, s26, s27
	s_mul_i32 s29, s26, s27
	s_mul_hi_u32 s26, s26, s30
	s_add_u32 s26, s26, s29
	s_addc_u32 s28, 0, s28
	s_mul_hi_u32 s31, s7, s30
	s_mul_i32 s30, s7, s30
	s_add_u32 s26, s26, s30
	s_mul_hi_u32 s29, s7, s27
	s_addc_u32 s26, s28, s31
	s_addc_u32 s28, s29, 0
	s_mul_i32 s27, s7, s27
	s_add_u32 s26, s26, s27
	s_addc_u32 s27, 0, s28
	v_add_co_u32_e32 v1, vcc, s26, v1
	s_cmp_lg_u64 vcc, 0
	s_addc_u32 s7, s7, s27
	v_readfirstlane_b32 s27, v1
	s_mul_i32 s26, s0, s7
	s_mul_hi_u32 s28, s0, s27
	s_add_i32 s26, s28, s26
	s_mul_i32 s1, s1, s27
	s_add_i32 s26, s26, s1
	s_mul_i32 s0, s0, s27
	s_mul_hi_u32 s28, s7, s0
	s_mul_i32 s29, s7, s0
	s_mul_i32 s31, s27, s26
	s_mul_hi_u32 s0, s27, s0
	s_mul_hi_u32 s30, s27, s26
	s_add_u32 s0, s0, s31
	s_addc_u32 s27, 0, s30
	s_add_u32 s0, s0, s29
	s_mul_hi_u32 s1, s7, s26
	s_addc_u32 s0, s27, s28
	s_addc_u32 s1, s1, 0
	s_mul_i32 s26, s7, s26
	s_add_u32 s0, s0, s26
	s_addc_u32 s1, 0, s1
	v_add_co_u32_e32 v1, vcc, s0, v1
	s_cmp_lg_u64 vcc, 0
	s_addc_u32 s7, s7, s1
	s_add_u32 s0, s18, s19
	s_mov_b32 s26, s19
	s_mov_b32 s27, s19
	s_addc_u32 s1, s19, s19
	s_xor_b64 s[28:29], s[0:1], s[26:27]
	v_readfirstlane_b32 s30, v1
	s_mul_i32 s1, s28, s7
	s_mul_hi_u32 s31, s28, s30
	s_mul_hi_u32 s0, s28, s7
	s_add_u32 s1, s31, s1
	s_addc_u32 s0, 0, s0
	s_mul_hi_u32 s33, s29, s30
	s_mul_i32 s30, s29, s30
	s_add_u32 s1, s1, s30
	s_mul_hi_u32 s31, s29, s7
	s_addc_u32 s0, s0, s33
	s_addc_u32 s1, s31, 0
	s_mul_i32 s7, s29, s7
	s_add_u32 s7, s0, s7
	s_addc_u32 s30, 0, s1
	s_mul_i32 s0, s24, s30
	s_mul_hi_u32 s1, s24, s7
	s_add_i32 s0, s1, s0
	s_mul_i32 s1, s25, s7
	s_add_i32 s31, s0, s1
	s_mul_i32 s1, s24, s7
	v_mov_b32_e32 v1, s1
	s_sub_i32 s0, s29, s31
	v_sub_co_u32_e32 v1, vcc, s28, v1
	s_cmp_lg_u64 vcc, 0
	s_subb_u32 s28, s0, s25
	v_subrev_co_u32_e64 v2, s[0:1], s24, v1
	s_cmp_lg_u64 s[0:1], 0
	s_subb_u32 s0, s28, 0
	s_cmp_ge_u32 s0, s25
	v_readfirstlane_b32 s28, v2
	s_cselect_b32 s1, -1, 0
	s_cmp_ge_u32 s28, s24
	s_cselect_b32 s28, -1, 0
	s_cmp_eq_u32 s0, s25
	s_cselect_b32 s0, s28, s1
	s_add_u32 s1, s7, 1
	s_addc_u32 s28, s30, 0
	s_add_u32 s33, s7, 2
	s_addc_u32 s34, s30, 0
	s_cmp_lg_u32 s0, 0
	s_cselect_b32 s0, s33, s1
	s_cselect_b32 s1, s34, s28
	s_cmp_lg_u64 vcc, 0
	s_subb_u32 s28, s29, s31
	s_cmp_ge_u32 s28, s25
	v_readfirstlane_b32 s31, v1
	s_cselect_b32 s29, -1, 0
	s_cmp_ge_u32 s31, s24
	s_cselect_b32 s24, -1, 0
	s_cmp_eq_u32 s28, s25
	s_cselect_b32 s24, s24, s29
	s_cmp_lg_u32 s24, 0
	s_cselect_b32 s1, s1, s30
	s_cselect_b32 s0, s0, s7
	s_xor_b64 s[20:21], s[26:27], s[20:21]
	s_xor_b64 s[0:1], s[0:1], s[20:21]
	s_sub_u32 s0, s0, s20
	s_subb_u32 s1, s1, s21
	s_cbranch_execnz .LBB37_6
.LBB37_5:
	v_cvt_f32_u32_e32 v1, s14
	s_sub_i32 s0, 0, s14
	s_mov_b32 s1, 0
	v_rcp_iflag_f32_e32 v1, v1
	v_mul_f32_e32 v1, 0x4f7ffffe, v1
	v_cvt_u32_f32_e32 v1, v1
	v_readfirstlane_b32 s7, v1
	s_mul_i32 s0, s0, s7
	s_mul_hi_u32 s0, s7, s0
	s_add_i32 s7, s7, s0
	s_mul_hi_u32 s0, s18, s7
	s_mul_i32 s20, s0, s14
	s_sub_i32 s20, s18, s20
	s_add_i32 s7, s0, 1
	s_sub_i32 s21, s20, s14
	s_cmp_ge_u32 s20, s14
	s_cselect_b32 s0, s7, s0
	s_cselect_b32 s20, s21, s20
	s_add_i32 s7, s0, 1
	s_cmp_ge_u32 s20, s14
	s_cselect_b32 s0, s7, s0
.LBB37_6:
	s_mul_i32 s7, s0, s15
	s_mul_hi_u32 s15, s0, s14
	s_add_i32 s7, s15, s7
	s_mul_i32 s15, s1, s14
	s_add_i32 s7, s7, s15
	s_mul_i32 s14, s0, s14
	s_sub_u32 s20, s18, s14
	s_subb_u32 s7, s19, s7
	s_bfe_i64 s[14:15], s[16:17], 0x200000
	s_mul_i32 s13, s16, s13
	s_mul_hi_u32 s14, s16, s12
	s_add_i32 s13, s14, s13
	s_mul_i32 s14, s15, s12
	s_add_i32 s13, s13, s14
	s_bfe_i64 s[14:15], s[0:1], 0x200000
	s_mul_i32 s1, s0, s11
	s_mul_hi_u32 s11, s0, s10
	s_add_i32 s1, s11, s1
	s_mul_i32 s11, s15, s10
	s_add_i32 s1, s1, s11
	s_mul_i32 s0, s0, s10
	s_mul_i32 s12, s16, s12
	s_lshl_b64 s[10:11], s[0:1], 1
	s_mul_i32 s0, s20, s9
	s_mul_hi_u32 s1, s20, s8
	s_load_dword s18, s[4:5], 0x48
	s_load_dword s15, s[4:5], 0x5c
	s_lshl_b64 s[12:13], s[12:13], 1
	s_add_i32 s0, s1, s0
	s_mul_i32 s7, s7, s8
	s_waitcnt lgkmcnt(0)
	s_add_u32 s16, s2, s12
	s_add_i32 s1, s0, s7
	s_mul_i32 s0, s20, s8
	s_add_u32 s14, s16, s10
	s_lshl_b64 s[8:9], s[0:1], 1
	s_add_u32 s0, s14, s8
	s_and_b32 s7, s15, 0xffff
	s_and_b32 s14, s0, 7
	s_mov_b32 s15, 0
	s_cmp_lg_u64 s[14:15], 0
	s_cselect_b64 s[14:15], -1, 0
	s_and_b32 s1, s18, 3
	s_cmp_lg_u32 s1, 0
	s_cselect_b64 s[16:17], -1, 0
	s_or_b64 s[14:15], s[16:17], s[14:15]
	s_and_b64 vcc, exec, s[14:15]
	s_cbranch_vccz .LBB37_20
; %bb.7:
	s_sub_i32 s0, 0, s0
	s_bfe_u32 s0, s0, 0x20001
	s_min_i32 s0, s0, s18
	v_cmp_gt_i32_e32 vcc, s0, v0
	v_mov_b32_e32 v1, 0
	s_and_saveexec_b64 s[14:15], vcc
	s_cbranch_execz .LBB37_11
; %bb.8:
	s_add_u32 s1, s8, s12
	s_addc_u32 s16, s9, s13
	s_add_u32 s1, s1, s10
	s_addc_u32 s16, s16, s11
	s_add_u32 s1, s2, s1
	v_lshlrev_b32_e32 v1, 1, v0
	s_addc_u32 s16, s3, s16
	s_mov_b32 s19, 0
	v_mov_b32_e32 v3, s16
	v_add_co_u32_e32 v2, vcc, s1, v1
	v_addc_co_u32_e32 v3, vcc, 0, v3, vcc
	s_lshl_b32 s1, s7, 1
	s_mov_b64 s[16:17], 0
	v_mov_b32_e32 v1, 0
	v_mov_b32_e32 v4, s19
	;; [unrolled: 1-line block ×3, first 2 shown]
.LBB37_9:                               ; =>This Inner Loop Header: Depth=1
	global_load_ushort v6, v[2:3], off
	v_add_co_u32_e32 v2, vcc, s1, v2
	v_add_u32_e32 v5, s7, v5
	v_addc_co_u32_e32 v3, vcc, v3, v4, vcc
	v_cmp_le_i32_e32 vcc, s0, v5
	s_or_b64 s[16:17], vcc, s[16:17]
	s_waitcnt vmcnt(0)
	v_fma_mix_f32 v1, v6, v6, v1 op_sel_hi:[1,1,0]
	s_andn2_b64 exec, exec, s[16:17]
	s_cbranch_execnz .LBB37_9
; %bb.10:
	s_or_b64 exec, exec, s[16:17]
.LBB37_11:
	s_or_b64 exec, exec, s[14:15]
	s_sub_i32 s19, s18, s0
	s_ashr_i32 s14, s19, 31
	s_lshr_b32 s14, s14, 30
	s_add_i32 s14, s19, s14
	s_ashr_i32 s20, s14, 2
	s_ashr_i32 s1, s0, 31
	v_cmp_gt_i32_e32 vcc, s20, v0
	s_and_saveexec_b64 s[14:15], vcc
	s_cbranch_execz .LBB37_15
; %bb.12:
	s_add_u32 s16, s8, s12
	s_addc_u32 s17, s9, s13
	s_add_u32 s21, s16, s10
	s_addc_u32 s22, s17, s11
	s_lshl_b64 s[16:17], s[0:1], 1
	s_add_u32 s16, s2, s16
	s_addc_u32 s17, s3, s17
	s_add_u32 s16, s16, s21
	v_lshlrev_b32_e32 v2, 3, v0
	s_addc_u32 s17, s17, s22
	s_mov_b32 s23, 0
	v_mov_b32_e32 v3, s17
	v_add_co_u32_e32 v2, vcc, s16, v2
	v_addc_co_u32_e32 v3, vcc, 0, v3, vcc
	s_lshl_b32 s21, s7, 3
	s_mov_b64 s[16:17], 0
	v_mov_b32_e32 v4, s23
	v_mov_b32_e32 v5, v0
.LBB37_13:                              ; =>This Inner Loop Header: Depth=1
	global_load_dwordx2 v[6:7], v[2:3], off
	v_add_co_u32_e32 v2, vcc, s21, v2
	v_add_u32_e32 v5, s7, v5
	v_addc_co_u32_e32 v3, vcc, v3, v4, vcc
	v_cmp_le_i32_e32 vcc, s20, v5
	s_or_b64 s[16:17], vcc, s[16:17]
	s_waitcnt vmcnt(0)
	v_fma_mix_f32 v1, v6, v6, v1 op_sel_hi:[1,1,0]
	v_fma_mix_f32 v1, v6, v6, v1 op_sel:[1,1,0] op_sel_hi:[1,1,0]
	v_fma_mix_f32 v1, v7, v7, v1 op_sel_hi:[1,1,0]
	v_fma_mix_f32 v1, v7, v7, v1 op_sel:[1,1,0] op_sel_hi:[1,1,0]
	s_andn2_b64 exec, exec, s[16:17]
	s_cbranch_execnz .LBB37_13
; %bb.14:
	s_or_b64 exec, exec, s[16:17]
.LBB37_15:
	s_or_b64 exec, exec, s[14:15]
	v_lshl_add_u32 v2, s20, 2, v0
	v_cmp_gt_i32_e32 vcc, s19, v2
	s_and_saveexec_b64 s[14:15], vcc
	s_cbranch_execz .LBB37_19
; %bb.16:
	s_add_u32 s16, s8, s12
	s_addc_u32 s17, s9, s13
	s_add_u32 s16, s16, s10
	s_addc_u32 s17, s17, s11
	s_lshl_b64 s[0:1], s[0:1], 1
	s_add_u32 s0, s16, s0
	s_addc_u32 s1, s17, s1
	v_ashrrev_i32_e32 v3, 31, v2
	s_add_u32 s0, s2, s0
	v_lshlrev_b64 v[4:5], 1, v[2:3]
	s_addc_u32 s1, s3, s1
	v_mov_b32_e32 v3, s1
	v_add_co_u32_e32 v4, vcc, s0, v4
	s_mov_b32 s17, 0
	v_addc_co_u32_e32 v5, vcc, v3, v5, vcc
	s_lshl_b32 s16, s7, 1
	s_mov_b64 s[0:1], 0
	v_mov_b32_e32 v3, s17
.LBB37_17:                              ; =>This Inner Loop Header: Depth=1
	global_load_ushort v6, v[4:5], off
	v_add_co_u32_e32 v4, vcc, s16, v4
	v_add_u32_e32 v2, s7, v2
	v_addc_co_u32_e32 v5, vcc, v5, v3, vcc
	v_cmp_le_i32_e32 vcc, s19, v2
	s_or_b64 s[0:1], vcc, s[0:1]
	s_waitcnt vmcnt(0)
	v_fma_mix_f32 v1, v6, v6, v1 op_sel_hi:[1,1,0]
	s_andn2_b64 exec, exec, s[0:1]
	s_cbranch_execnz .LBB37_17
; %bb.18:
	s_or_b64 exec, exec, s[0:1]
.LBB37_19:
	s_or_b64 exec, exec, s[14:15]
	s_branch .LBB37_26
.LBB37_20:
                                        ; implicit-def: $vgpr1
	s_cbranch_execz .LBB37_26
; %bb.21:
	s_ashr_i32 s16, s18, 2
	v_cmp_gt_i32_e32 vcc, s16, v0
	v_mov_b32_e32 v1, 0
	s_and_saveexec_b64 s[0:1], vcc
	s_cbranch_execz .LBB37_25
; %bb.22:
	s_add_u32 s14, s8, s12
	s_addc_u32 s15, s9, s13
	s_add_u32 s14, s14, s10
	s_addc_u32 s15, s15, s11
	s_add_u32 s14, s2, s14
	v_lshlrev_b32_e32 v1, 3, v0
	s_addc_u32 s15, s3, s15
	s_mov_b32 s19, 0
	v_mov_b32_e32 v3, s15
	v_add_co_u32_e32 v2, vcc, s14, v1
	v_addc_co_u32_e32 v3, vcc, 0, v3, vcc
	s_lshl_b32 s17, s7, 3
	s_mov_b64 s[14:15], 0
	v_mov_b32_e32 v1, 0
	v_mov_b32_e32 v4, s19
	;; [unrolled: 1-line block ×3, first 2 shown]
.LBB37_23:                              ; =>This Inner Loop Header: Depth=1
	global_load_dwordx2 v[6:7], v[2:3], off
	v_add_co_u32_e32 v2, vcc, s17, v2
	v_add_u32_e32 v5, s7, v5
	v_addc_co_u32_e32 v3, vcc, v3, v4, vcc
	v_cmp_le_i32_e32 vcc, s16, v5
	s_or_b64 s[14:15], vcc, s[14:15]
	s_waitcnt vmcnt(0)
	v_fma_mix_f32 v1, v6, v6, v1 op_sel_hi:[1,1,0]
	v_fma_mix_f32 v1, v6, v6, v1 op_sel:[1,1,0] op_sel_hi:[1,1,0]
	v_fma_mix_f32 v1, v7, v7, v1 op_sel_hi:[1,1,0]
	v_fma_mix_f32 v1, v7, v7, v1 op_sel:[1,1,0] op_sel_hi:[1,1,0]
	s_andn2_b64 exec, exec, s[14:15]
	s_cbranch_execnz .LBB37_23
; %bb.24:
	s_or_b64 exec, exec, s[14:15]
.LBB37_25:
	s_or_b64 exec, exec, s[0:1]
.LBB37_26:
	v_mbcnt_lo_u32_b32 v2, -1, 0
	v_mbcnt_hi_u32_b32 v2, -1, v2
	v_and_b32_e32 v3, 63, v2
	v_cmp_ne_u32_e32 vcc, 63, v3
	v_addc_co_u32_e32 v4, vcc, 0, v2, vcc
	v_lshlrev_b32_e32 v4, 2, v4
	ds_bpermute_b32 v4, v4, v1
	v_and_b32_e32 v5, 0x3c0, v0
	v_sub_u32_e64 v5, s7, v5 clamp
	v_add_u32_e32 v6, 1, v2
	v_cmp_lt_u32_e32 vcc, v6, v5
	s_waitcnt lgkmcnt(0)
	v_add_f32_e32 v4, v1, v4
	v_cndmask_b32_e32 v1, v1, v4, vcc
	v_cmp_gt_u32_e32 vcc, 62, v3
	v_cndmask_b32_e64 v4, 0, 1, vcc
	v_lshlrev_b32_e32 v4, 1, v4
	v_add_lshl_u32 v4, v4, v2, 2
	ds_bpermute_b32 v4, v4, v1
	v_add_u32_e32 v6, 2, v2
	v_cmp_lt_u32_e32 vcc, v6, v5
	v_add_u32_e32 v6, 4, v2
	s_waitcnt lgkmcnt(0)
	v_add_f32_e32 v4, v1, v4
	v_cndmask_b32_e32 v1, v1, v4, vcc
	v_cmp_gt_u32_e32 vcc, 60, v3
	v_cndmask_b32_e64 v4, 0, 1, vcc
	v_lshlrev_b32_e32 v4, 2, v4
	v_add_lshl_u32 v4, v4, v2, 2
	ds_bpermute_b32 v4, v4, v1
	v_cmp_lt_u32_e32 vcc, v6, v5
	v_add_u32_e32 v6, 8, v2
	s_waitcnt lgkmcnt(0)
	v_add_f32_e32 v4, v1, v4
	v_cndmask_b32_e32 v1, v1, v4, vcc
	v_cmp_gt_u32_e32 vcc, 56, v3
	v_cndmask_b32_e64 v4, 0, 1, vcc
	v_lshlrev_b32_e32 v4, 3, v4
	v_add_lshl_u32 v4, v4, v2, 2
	ds_bpermute_b32 v4, v4, v1
	;; [unrolled: 10-line block ×3, first 2 shown]
	v_cmp_lt_u32_e32 vcc, v6, v5
	s_waitcnt lgkmcnt(0)
	v_add_f32_e32 v4, v1, v4
	v_cndmask_b32_e32 v1, v1, v4, vcc
	v_cmp_gt_u32_e32 vcc, 32, v3
	v_cndmask_b32_e64 v3, 0, 1, vcc
	v_lshlrev_b32_e32 v3, 5, v3
	v_add_lshl_u32 v3, v3, v2, 2
	ds_bpermute_b32 v3, v3, v1
	v_add_u32_e32 v4, 32, v2
	v_cmp_lt_u32_e32 vcc, v4, v5
	s_waitcnt lgkmcnt(0)
	v_add_f32_e32 v3, v1, v3
	v_cndmask_b32_e32 v1, v1, v3, vcc
	v_cmp_eq_u32_e32 vcc, 0, v2
	s_and_saveexec_b64 s[0:1], vcc
	s_cbranch_execz .LBB37_28
; %bb.27:
	v_lshrrev_b32_e32 v3, 4, v0
	v_and_b32_e32 v3, 60, v3
	ds_write_b32 v3, v1
.LBB37_28:
	s_or_b64 exec, exec, s[0:1]
	v_cmp_gt_u32_e32 vcc, 16, v0
	s_waitcnt lgkmcnt(0)
	s_barrier
	s_and_saveexec_b64 s[14:15], vcc
	s_cbranch_execz .LBB37_30
; %bb.29:
	v_lshlrev_b32_e32 v1, 2, v2
	ds_read_b32 v1, v1
	v_and_b32_e32 v3, 15, v2
	v_cmp_ne_u32_e32 vcc, 15, v3
	v_addc_co_u32_e32 v4, vcc, 0, v2, vcc
	v_lshlrev_b32_e32 v4, 2, v4
	s_waitcnt lgkmcnt(0)
	ds_bpermute_b32 v4, v4, v1
	s_add_i32 s0, s7, 63
	s_lshr_b32 s16, s0, 6
	v_add_u32_e32 v5, 1, v3
	v_cmp_gt_u32_e64 s[0:1], 14, v3
	v_cmp_gt_u32_e32 vcc, s16, v5
	v_cndmask_b32_e64 v5, 0, 1, s[0:1]
	s_waitcnt lgkmcnt(0)
	v_add_f32_e32 v4, v1, v4
	v_lshlrev_b32_e32 v5, 1, v5
	v_cndmask_b32_e32 v4, v1, v4, vcc
	v_add_lshl_u32 v5, v5, v2, 2
	ds_bpermute_b32 v5, v5, v4
	v_add_u32_e32 v6, 2, v3
	v_cmp_gt_u32_e64 s[0:1], s16, v6
	v_add_u32_e32 v6, 4, v3
	s_waitcnt lgkmcnt(0)
	v_add_f32_e32 v5, v4, v5
	v_cndmask_b32_e64 v4, v4, v5, s[0:1]
	v_cmp_gt_u32_e64 s[0:1], 12, v3
	v_cndmask_b32_e64 v5, 0, 1, s[0:1]
	v_lshlrev_b32_e32 v5, 2, v5
	v_add_lshl_u32 v5, v5, v2, 2
	ds_bpermute_b32 v5, v5, v4
	v_cmp_gt_u32_e64 s[0:1], s16, v6
	s_waitcnt lgkmcnt(0)
	v_add_f32_e32 v5, v4, v5
	v_cndmask_b32_e64 v4, v4, v5, s[0:1]
	v_cmp_gt_u32_e64 s[0:1], 8, v3
	v_cndmask_b32_e64 v5, 0, 1, s[0:1]
	v_lshlrev_b32_e32 v5, 3, v5
	v_add_lshl_u32 v2, v5, v2, 2
	ds_bpermute_b32 v2, v2, v4
	v_add_u32_e32 v3, 8, v3
	v_cmp_gt_u32_e64 s[0:1], s16, v3
	s_waitcnt lgkmcnt(0)
	v_add_f32_e32 v2, v4, v2
	v_cndmask_b32_e64 v2, v4, v2, s[0:1]
	v_cndmask_b32_e32 v1, v1, v2, vcc
.LBB37_30:
	s_or_b64 exec, exec, s[14:15]
	v_cmp_eq_u32_e32 vcc, 0, v0
	s_and_saveexec_b64 s[0:1], vcc
	s_cbranch_execz .LBB37_32
; %bb.31:
	v_cvt_f32_i32_e32 v2, s18
	s_load_dword s16, s[4:5], 0x40
	v_div_scale_f32 v3, s[14:15], v2, v2, v1
	v_rcp_f32_e32 v4, v3
	v_div_scale_f32 v5, vcc, v1, v2, v1
	s_mov_b32 s14, 0x800000
	v_fma_f32 v6, -v3, v4, 1.0
	v_fmac_f32_e32 v4, v6, v4
	v_mul_f32_e32 v6, v5, v4
	v_fma_f32 v7, -v3, v6, v5
	v_fmac_f32_e32 v6, v7, v4
	v_fma_f32 v3, -v3, v6, v5
	v_div_fmas_f32 v3, v3, v4, v6
	v_div_fixup_f32 v1, v3, v2, v1
	s_waitcnt lgkmcnt(0)
	v_add_f32_e32 v1, s16, v1
	v_mul_f32_e32 v2, 0x4b800000, v1
	v_cmp_gt_f32_e32 vcc, s14, v1
	v_cndmask_b32_e32 v1, v1, v2, vcc
	v_rsq_f32_e32 v1, v1
	v_mul_f32_e32 v2, 0x45800000, v1
	v_cndmask_b32_e32 v1, v1, v2, vcc
	v_mov_b32_e32 v2, 0
	ds_write_b32 v2, v1 offset:64
.LBB37_32:
	s_or_b64 exec, exec, s[0:1]
	s_ashr_i32 s0, s18, 31
	s_lshr_b32 s0, s0, 30
	s_add_i32 s0, s18, s0
	s_ashr_i32 s14, s0, 2
	v_cmp_gt_i32_e32 vcc, s14, v0
	s_waitcnt lgkmcnt(0)
	s_barrier
	s_and_saveexec_b64 s[0:1], vcc
	s_cbranch_execz .LBB37_35
; %bb.33:
	v_mov_b32_e32 v1, 0
	ds_read_b32 v2, v1 offset:64
	s_load_dwordx2 s[0:1], s[4:5], 0x0
	s_load_dwordx2 s[16:17], s[4:5], 0x38
	s_add_u32 s4, s8, s12
	s_addc_u32 s5, s9, s13
	s_add_u32 s4, s4, s10
	s_addc_u32 s5, s5, s11
	s_add_u32 s2, s2, s4
	v_lshlrev_b32_e32 v4, 3, v0
	s_addc_u32 s3, s3, s5
	s_mul_i32 s18, s6, s18
	s_mov_b32 s19, 0
	v_mov_b32_e32 v5, s3
	v_add_co_u32_e32 v1, vcc, s2, v4
	v_addc_co_u32_e32 v6, vcc, 0, v5, vcc
	s_lshl_b32 s4, s7, 3
	s_lshl_b64 s[2:3], s[18:19], 1
	s_waitcnt lgkmcnt(0)
	v_mov_b32_e32 v5, s17
	v_add_co_u32_e32 v7, vcc, s16, v4
	s_add_u32 s0, s0, s2
	v_addc_co_u32_e32 v8, vcc, 0, v5, vcc
	s_addc_u32 s1, s1, s3
	v_mov_b32_e32 v5, s1
	v_add_co_u32_e32 v9, vcc, s0, v4
	v_mov_b32_e32 v3, v2
	v_addc_co_u32_e32 v10, vcc, 0, v5, vcc
	s_mov_b64 s[0:1], 0
	v_mov_b32_e32 v4, v2
	v_mov_b32_e32 v5, v2
	s_mov_b64 s[2:3], 0
.LBB37_34:                              ; =>This Inner Loop Header: Depth=1
	v_mov_b32_e32 v11, s3
	v_add_co_u32_e32 v12, vcc, s2, v1
	v_addc_co_u32_e32 v13, vcc, v6, v11, vcc
	global_load_dwordx2 v[12:13], v[12:13], off
	v_add_co_u32_e32 v14, vcc, s2, v7
	v_addc_co_u32_e32 v15, vcc, v8, v11, vcc
	global_load_dwordx2 v[14:15], v[14:15], off
	v_add_co_u32_e32 v16, vcc, s2, v9
	v_addc_co_u32_e32 v17, vcc, v10, v11, vcc
	v_add_u32_e32 v0, s7, v0
	s_add_u32 s2, s2, s4
	s_addc_u32 s3, s3, 0
	v_cmp_le_i32_e32 vcc, s14, v0
	s_or_b64 s[0:1], vcc, s[0:1]
	s_waitcnt vmcnt(1)
	v_cvt_f32_f16_e32 v18, v12
	v_cvt_f32_f16_e32 v20, v13
	v_cvt_f32_f16_sdwa v21, v13 dst_sel:DWORD dst_unused:UNUSED_PAD src0_sel:WORD_1
	v_cvt_f32_f16_sdwa v19, v12 dst_sel:DWORD dst_unused:UNUSED_PAD src0_sel:WORD_1
	v_pk_mul_f32 v[12:13], v[4:5], v[20:21]
	v_pk_mul_f32 v[18:19], v[2:3], v[18:19]
	v_cvt_f16_f32_e32 v11, v19
	v_cvt_f16_f32_e32 v13, v13
	v_cvt_f16_f32_e32 v12, v12
	v_cvt_f16_f32_e32 v18, v18
	v_pack_b32_f16 v12, v12, v13
	v_pack_b32_f16 v11, v18, v11
	s_waitcnt vmcnt(0)
	v_pk_mul_f16 v13, v15, v12
	v_pk_mul_f16 v12, v14, v11
	global_store_dwordx2 v[16:17], v[12:13], off
	s_andn2_b64 exec, exec, s[0:1]
	s_cbranch_execnz .LBB37_34
.LBB37_35:
	s_endpgm
.LBB37_36:
                                        ; implicit-def: $sgpr16_sgpr17
	s_branch .LBB37_2
.LBB37_37:
                                        ; implicit-def: $sgpr0_sgpr1
	s_branch .LBB37_5
	.section	.rodata,"a",@progbits
	.p2align	6, 0x0
	.amdhsa_kernel _ZN4vllm15rms_norm_kernelIN3c104HalfELi4ELi4EEEvPT_PKS3_lllllS6_fii
		.amdhsa_group_segment_fixed_size 68
		.amdhsa_private_segment_fixed_size 0
		.amdhsa_kernarg_size 336
		.amdhsa_user_sgpr_count 6
		.amdhsa_user_sgpr_private_segment_buffer 1
		.amdhsa_user_sgpr_dispatch_ptr 0
		.amdhsa_user_sgpr_queue_ptr 0
		.amdhsa_user_sgpr_kernarg_segment_ptr 1
		.amdhsa_user_sgpr_dispatch_id 0
		.amdhsa_user_sgpr_flat_scratch_init 0
		.amdhsa_user_sgpr_kernarg_preload_length 0
		.amdhsa_user_sgpr_kernarg_preload_offset 0
		.amdhsa_user_sgpr_private_segment_size 0
		.amdhsa_uses_dynamic_stack 0
		.amdhsa_system_sgpr_private_segment_wavefront_offset 0
		.amdhsa_system_sgpr_workgroup_id_x 1
		.amdhsa_system_sgpr_workgroup_id_y 0
		.amdhsa_system_sgpr_workgroup_id_z 0
		.amdhsa_system_sgpr_workgroup_info 0
		.amdhsa_system_vgpr_workitem_id 0
		.amdhsa_next_free_vgpr 22
		.amdhsa_next_free_sgpr 35
		.amdhsa_accum_offset 24
		.amdhsa_reserve_vcc 1
		.amdhsa_reserve_flat_scratch 0
		.amdhsa_float_round_mode_32 0
		.amdhsa_float_round_mode_16_64 0
		.amdhsa_float_denorm_mode_32 3
		.amdhsa_float_denorm_mode_16_64 3
		.amdhsa_dx10_clamp 1
		.amdhsa_ieee_mode 1
		.amdhsa_fp16_overflow 0
		.amdhsa_tg_split 0
		.amdhsa_exception_fp_ieee_invalid_op 0
		.amdhsa_exception_fp_denorm_src 0
		.amdhsa_exception_fp_ieee_div_zero 0
		.amdhsa_exception_fp_ieee_overflow 0
		.amdhsa_exception_fp_ieee_underflow 0
		.amdhsa_exception_fp_ieee_inexact 0
		.amdhsa_exception_int_div_zero 0
	.end_amdhsa_kernel
	.section	.text._ZN4vllm15rms_norm_kernelIN3c104HalfELi4ELi4EEEvPT_PKS3_lllllS6_fii,"axG",@progbits,_ZN4vllm15rms_norm_kernelIN3c104HalfELi4ELi4EEEvPT_PKS3_lllllS6_fii,comdat
.Lfunc_end37:
	.size	_ZN4vllm15rms_norm_kernelIN3c104HalfELi4ELi4EEEvPT_PKS3_lllllS6_fii, .Lfunc_end37-_ZN4vllm15rms_norm_kernelIN3c104HalfELi4ELi4EEEvPT_PKS3_lllllS6_fii
                                        ; -- End function
	.section	.AMDGPU.csdata,"",@progbits
; Kernel info:
; codeLenInByte = 3388
; NumSgprs: 39
; NumVgprs: 22
; NumAgprs: 0
; TotalNumVgprs: 22
; ScratchSize: 0
; MemoryBound: 0
; FloatMode: 240
; IeeeMode: 1
; LDSByteSize: 68 bytes/workgroup (compile time only)
; SGPRBlocks: 4
; VGPRBlocks: 2
; NumSGPRsForWavesPerEU: 39
; NumVGPRsForWavesPerEU: 22
; AccumOffset: 24
; Occupancy: 8
; WaveLimiterHint : 0
; COMPUTE_PGM_RSRC2:SCRATCH_EN: 0
; COMPUTE_PGM_RSRC2:USER_SGPR: 6
; COMPUTE_PGM_RSRC2:TRAP_HANDLER: 0
; COMPUTE_PGM_RSRC2:TGID_X_EN: 1
; COMPUTE_PGM_RSRC2:TGID_Y_EN: 0
; COMPUTE_PGM_RSRC2:TGID_Z_EN: 0
; COMPUTE_PGM_RSRC2:TIDIG_COMP_CNT: 0
; COMPUTE_PGM_RSRC3_GFX90A:ACCUM_OFFSET: 5
; COMPUTE_PGM_RSRC3_GFX90A:TG_SPLIT: 0
	.section	.text._ZN4vllm15rms_norm_kernelIN3c104HalfELi2ELi4EEEvPT_PKS3_lllllS6_fii,"axG",@progbits,_ZN4vllm15rms_norm_kernelIN3c104HalfELi2ELi4EEEvPT_PKS3_lllllS6_fii,comdat
	.protected	_ZN4vllm15rms_norm_kernelIN3c104HalfELi2ELi4EEEvPT_PKS3_lllllS6_fii ; -- Begin function _ZN4vllm15rms_norm_kernelIN3c104HalfELi2ELi4EEEvPT_PKS3_lllllS6_fii
	.globl	_ZN4vllm15rms_norm_kernelIN3c104HalfELi2ELi4EEEvPT_PKS3_lllllS6_fii
	.p2align	8
	.type	_ZN4vllm15rms_norm_kernelIN3c104HalfELi2ELi4EEEvPT_PKS3_lllllS6_fii,@function
_ZN4vllm15rms_norm_kernelIN3c104HalfELi2ELi4EEEvPT_PKS3_lllllS6_fii: ; @_ZN4vllm15rms_norm_kernelIN3c104HalfELi2ELi4EEEvPT_PKS3_lllllS6_fii
; %bb.0:
	s_load_dwordx8 s[8:15], s[4:5], 0x10
	s_load_dwordx2 s[2:3], s[4:5], 0x30
	s_mov_b32 s0, 0
	s_waitcnt lgkmcnt(0)
	s_mul_i32 s1, s2, s15
	s_mul_hi_u32 s7, s2, s14
	s_add_i32 s1, s7, s1
	s_mul_i32 s3, s3, s14
	s_add_i32 s1, s1, s3
	s_cmp_lg_u64 s[0:1], 0
	s_mul_i32 s7, s2, s14
	s_cbranch_scc0 .LBB38_35
; %bb.1:
	s_ashr_i32 s2, s1, 31
	s_add_u32 s0, s7, s2
	s_mov_b32 s3, s2
	s_addc_u32 s1, s1, s2
	s_xor_b64 s[16:17], s[0:1], s[2:3]
	v_cvt_f32_u32_e32 v1, s16
	v_cvt_f32_u32_e32 v2, s17
	s_sub_u32 s0, 0, s16
	s_subb_u32 s1, 0, s17
	v_madmk_f32 v1, v2, 0x4f800000, v1
	v_rcp_f32_e32 v1, v1
	v_mul_f32_e32 v1, 0x5f7ffffc, v1
	v_mul_f32_e32 v2, 0x2f800000, v1
	v_trunc_f32_e32 v2, v2
	v_madmk_f32 v1, v2, 0xcf800000, v1
	v_cvt_u32_f32_e32 v2, v2
	v_cvt_u32_f32_e32 v1, v1
	v_readfirstlane_b32 s20, v2
	v_readfirstlane_b32 s21, v1
	s_mul_i32 s22, s0, s20
	s_mul_hi_u32 s24, s0, s21
	s_mul_i32 s23, s1, s21
	s_add_i32 s22, s24, s22
	s_add_i32 s22, s22, s23
	s_mul_i32 s25, s0, s21
	s_mul_hi_u32 s23, s21, s22
	s_mul_i32 s24, s21, s22
	s_mul_hi_u32 s21, s21, s25
	s_add_u32 s21, s21, s24
	s_addc_u32 s23, 0, s23
	s_mul_hi_u32 s26, s20, s25
	s_mul_i32 s25, s20, s25
	s_add_u32 s21, s21, s25
	s_mul_hi_u32 s24, s20, s22
	s_addc_u32 s21, s23, s26
	s_addc_u32 s23, s24, 0
	s_mul_i32 s22, s20, s22
	s_add_u32 s21, s21, s22
	s_addc_u32 s22, 0, s23
	v_add_co_u32_e32 v1, vcc, s21, v1
	s_cmp_lg_u64 vcc, 0
	s_addc_u32 s20, s20, s22
	v_readfirstlane_b32 s22, v1
	s_mul_i32 s21, s0, s20
	s_mul_hi_u32 s23, s0, s22
	s_add_i32 s21, s23, s21
	s_mul_i32 s1, s1, s22
	s_add_i32 s21, s21, s1
	s_mul_i32 s0, s0, s22
	s_mul_hi_u32 s23, s20, s0
	s_mul_i32 s24, s20, s0
	s_mul_i32 s26, s22, s21
	s_mul_hi_u32 s0, s22, s0
	s_mul_hi_u32 s25, s22, s21
	s_add_u32 s0, s0, s26
	s_addc_u32 s22, 0, s25
	s_add_u32 s0, s0, s24
	s_mul_hi_u32 s1, s20, s21
	s_addc_u32 s0, s22, s23
	s_addc_u32 s1, s1, 0
	s_mul_i32 s21, s20, s21
	s_add_u32 s0, s0, s21
	s_addc_u32 s1, 0, s1
	v_add_co_u32_e32 v1, vcc, s0, v1
	s_cmp_lg_u64 vcc, 0
	s_addc_u32 s0, s20, s1
	v_readfirstlane_b32 s20, v1
	s_mul_hi_u32 s1, s6, s0
	s_mul_i32 s0, s6, s0
	s_mul_hi_u32 s20, s6, s20
	s_add_u32 s0, s20, s0
	s_addc_u32 s1, 0, s1
	s_add_u32 s0, s0, 0
	s_addc_u32 s0, s1, 0
	s_addc_u32 s1, 0, 0
	s_add_u32 s20, s0, 0
	s_addc_u32 s21, 0, s1
	s_mul_i32 s0, s16, s21
	s_mul_hi_u32 s1, s16, s20
	s_add_i32 s0, s1, s0
	s_mul_i32 s1, s17, s20
	s_add_i32 s22, s0, s1
	s_mul_i32 s1, s16, s20
	v_mov_b32_e32 v1, s1
	s_sub_i32 s0, 0, s22
	v_sub_co_u32_e32 v1, vcc, s6, v1
	s_cmp_lg_u64 vcc, 0
	s_subb_u32 s23, s0, s17
	v_subrev_co_u32_e64 v2, s[0:1], s16, v1
	s_cmp_lg_u64 s[0:1], 0
	s_subb_u32 s0, s23, 0
	s_cmp_ge_u32 s0, s17
	v_readfirstlane_b32 s23, v2
	s_cselect_b32 s1, -1, 0
	s_cmp_ge_u32 s23, s16
	s_cselect_b32 s23, -1, 0
	s_cmp_eq_u32 s0, s17
	s_cselect_b32 s0, s23, s1
	s_add_u32 s1, s20, 1
	s_addc_u32 s23, s21, 0
	s_add_u32 s24, s20, 2
	s_addc_u32 s25, s21, 0
	s_cmp_lg_u32 s0, 0
	s_cselect_b32 s0, s24, s1
	s_cselect_b32 s1, s25, s23
	s_cmp_lg_u64 vcc, 0
	s_subb_u32 s22, 0, s22
	s_cmp_ge_u32 s22, s17
	v_readfirstlane_b32 s24, v1
	s_cselect_b32 s23, -1, 0
	s_cmp_ge_u32 s24, s16
	s_cselect_b32 s16, -1, 0
	s_cmp_eq_u32 s22, s17
	s_cselect_b32 s16, s16, s23
	s_cmp_lg_u32 s16, 0
	s_cselect_b32 s1, s1, s21
	s_cselect_b32 s0, s0, s20
	s_xor_b64 s[0:1], s[0:1], s[2:3]
	s_sub_u32 s16, s0, s2
	s_subb_u32 s17, s1, s2
	s_cbranch_execnz .LBB38_3
.LBB38_2:
	v_cvt_f32_u32_e32 v1, s7
	s_sub_i32 s0, 0, s7
	s_mov_b32 s17, 0
	v_rcp_iflag_f32_e32 v1, v1
	v_mul_f32_e32 v1, 0x4f7ffffe, v1
	v_cvt_u32_f32_e32 v1, v1
	v_readfirstlane_b32 s1, v1
	s_mul_i32 s0, s0, s1
	s_mul_hi_u32 s0, s1, s0
	s_add_i32 s1, s1, s0
	s_mul_hi_u32 s0, s6, s1
	s_mul_i32 s2, s0, s7
	s_sub_i32 s2, s6, s2
	s_add_i32 s1, s0, 1
	s_sub_i32 s3, s2, s7
	s_cmp_ge_u32 s2, s7
	s_cselect_b32 s0, s1, s0
	s_cselect_b32 s2, s3, s2
	s_add_i32 s1, s0, 1
	s_cmp_ge_u32 s2, s7
	s_cselect_b32 s16, s1, s0
.LBB38_3:
	s_mul_i32 s0, s16, s7
	s_load_dwordx2 s[2:3], s[4:5], 0x8
	s_sub_i32 s18, s6, s0
	s_ashr_i32 s19, s18, 31
	s_or_b64 s[0:1], s[18:19], s[14:15]
	s_mov_b32 s0, 0
	s_cmp_lg_u64 s[0:1], 0
	s_cbranch_scc0 .LBB38_36
; %bb.4:
	s_ashr_i32 s20, s15, 31
	s_add_u32 s0, s14, s20
	s_mov_b32 s21, s20
	s_addc_u32 s1, s15, s20
	s_xor_b64 s[24:25], s[0:1], s[20:21]
	v_cvt_f32_u32_e32 v1, s24
	v_cvt_f32_u32_e32 v2, s25
	s_sub_u32 s0, 0, s24
	s_subb_u32 s1, 0, s25
	v_madmk_f32 v1, v2, 0x4f800000, v1
	v_rcp_f32_e32 v1, v1
	v_mul_f32_e32 v1, 0x5f7ffffc, v1
	v_mul_f32_e32 v2, 0x2f800000, v1
	v_trunc_f32_e32 v2, v2
	v_madmk_f32 v1, v2, 0xcf800000, v1
	v_cvt_u32_f32_e32 v2, v2
	v_cvt_u32_f32_e32 v1, v1
	v_readfirstlane_b32 s7, v2
	v_readfirstlane_b32 s26, v1
	s_mul_i32 s27, s0, s7
	s_mul_hi_u32 s29, s0, s26
	s_mul_i32 s28, s1, s26
	s_add_i32 s27, s29, s27
	s_add_i32 s27, s27, s28
	s_mul_i32 s30, s0, s26
	s_mul_hi_u32 s28, s26, s27
	s_mul_i32 s29, s26, s27
	s_mul_hi_u32 s26, s26, s30
	s_add_u32 s26, s26, s29
	s_addc_u32 s28, 0, s28
	s_mul_hi_u32 s31, s7, s30
	s_mul_i32 s30, s7, s30
	s_add_u32 s26, s26, s30
	s_mul_hi_u32 s29, s7, s27
	s_addc_u32 s26, s28, s31
	s_addc_u32 s28, s29, 0
	s_mul_i32 s27, s7, s27
	s_add_u32 s26, s26, s27
	s_addc_u32 s27, 0, s28
	v_add_co_u32_e32 v1, vcc, s26, v1
	s_cmp_lg_u64 vcc, 0
	s_addc_u32 s7, s7, s27
	v_readfirstlane_b32 s27, v1
	s_mul_i32 s26, s0, s7
	s_mul_hi_u32 s28, s0, s27
	s_add_i32 s26, s28, s26
	s_mul_i32 s1, s1, s27
	s_add_i32 s26, s26, s1
	s_mul_i32 s0, s0, s27
	s_mul_hi_u32 s28, s7, s0
	s_mul_i32 s29, s7, s0
	s_mul_i32 s31, s27, s26
	s_mul_hi_u32 s0, s27, s0
	s_mul_hi_u32 s30, s27, s26
	s_add_u32 s0, s0, s31
	s_addc_u32 s27, 0, s30
	s_add_u32 s0, s0, s29
	s_mul_hi_u32 s1, s7, s26
	s_addc_u32 s0, s27, s28
	s_addc_u32 s1, s1, 0
	s_mul_i32 s26, s7, s26
	s_add_u32 s0, s0, s26
	s_addc_u32 s1, 0, s1
	v_add_co_u32_e32 v1, vcc, s0, v1
	s_cmp_lg_u64 vcc, 0
	s_addc_u32 s7, s7, s1
	s_add_u32 s0, s18, s19
	s_mov_b32 s26, s19
	s_mov_b32 s27, s19
	s_addc_u32 s1, s19, s19
	s_xor_b64 s[28:29], s[0:1], s[26:27]
	v_readfirstlane_b32 s30, v1
	s_mul_i32 s1, s28, s7
	s_mul_hi_u32 s31, s28, s30
	s_mul_hi_u32 s0, s28, s7
	s_add_u32 s1, s31, s1
	s_addc_u32 s0, 0, s0
	s_mul_hi_u32 s33, s29, s30
	s_mul_i32 s30, s29, s30
	s_add_u32 s1, s1, s30
	s_mul_hi_u32 s31, s29, s7
	s_addc_u32 s0, s0, s33
	s_addc_u32 s1, s31, 0
	s_mul_i32 s7, s29, s7
	s_add_u32 s7, s0, s7
	s_addc_u32 s30, 0, s1
	s_mul_i32 s0, s24, s30
	s_mul_hi_u32 s1, s24, s7
	s_add_i32 s0, s1, s0
	s_mul_i32 s1, s25, s7
	s_add_i32 s31, s0, s1
	s_mul_i32 s1, s24, s7
	v_mov_b32_e32 v1, s1
	s_sub_i32 s0, s29, s31
	v_sub_co_u32_e32 v1, vcc, s28, v1
	s_cmp_lg_u64 vcc, 0
	s_subb_u32 s28, s0, s25
	v_subrev_co_u32_e64 v2, s[0:1], s24, v1
	s_cmp_lg_u64 s[0:1], 0
	s_subb_u32 s0, s28, 0
	s_cmp_ge_u32 s0, s25
	v_readfirstlane_b32 s28, v2
	s_cselect_b32 s1, -1, 0
	s_cmp_ge_u32 s28, s24
	s_cselect_b32 s28, -1, 0
	s_cmp_eq_u32 s0, s25
	s_cselect_b32 s0, s28, s1
	s_add_u32 s1, s7, 1
	s_addc_u32 s28, s30, 0
	s_add_u32 s33, s7, 2
	s_addc_u32 s34, s30, 0
	s_cmp_lg_u32 s0, 0
	s_cselect_b32 s0, s33, s1
	s_cselect_b32 s1, s34, s28
	s_cmp_lg_u64 vcc, 0
	s_subb_u32 s28, s29, s31
	s_cmp_ge_u32 s28, s25
	v_readfirstlane_b32 s31, v1
	s_cselect_b32 s29, -1, 0
	s_cmp_ge_u32 s31, s24
	s_cselect_b32 s24, -1, 0
	s_cmp_eq_u32 s28, s25
	s_cselect_b32 s24, s24, s29
	s_cmp_lg_u32 s24, 0
	s_cselect_b32 s1, s1, s30
	s_cselect_b32 s0, s0, s7
	s_xor_b64 s[20:21], s[26:27], s[20:21]
	s_xor_b64 s[0:1], s[0:1], s[20:21]
	s_sub_u32 s0, s0, s20
	s_subb_u32 s1, s1, s21
	s_cbranch_execnz .LBB38_6
.LBB38_5:
	v_cvt_f32_u32_e32 v1, s14
	s_sub_i32 s0, 0, s14
	s_mov_b32 s1, 0
	v_rcp_iflag_f32_e32 v1, v1
	v_mul_f32_e32 v1, 0x4f7ffffe, v1
	v_cvt_u32_f32_e32 v1, v1
	v_readfirstlane_b32 s7, v1
	s_mul_i32 s0, s0, s7
	s_mul_hi_u32 s0, s7, s0
	s_add_i32 s7, s7, s0
	s_mul_hi_u32 s0, s18, s7
	s_mul_i32 s20, s0, s14
	s_sub_i32 s20, s18, s20
	s_add_i32 s7, s0, 1
	s_sub_i32 s21, s20, s14
	s_cmp_ge_u32 s20, s14
	s_cselect_b32 s0, s7, s0
	s_cselect_b32 s20, s21, s20
	s_add_i32 s7, s0, 1
	s_cmp_ge_u32 s20, s14
	s_cselect_b32 s0, s7, s0
.LBB38_6:
	s_mul_i32 s7, s0, s15
	s_mul_hi_u32 s15, s0, s14
	s_add_i32 s7, s15, s7
	s_mul_i32 s15, s1, s14
	s_add_i32 s7, s7, s15
	s_mul_i32 s14, s0, s14
	s_sub_u32 s18, s18, s14
	s_subb_u32 s7, s19, s7
	s_bfe_i64 s[14:15], s[16:17], 0x200000
	s_mul_i32 s13, s16, s13
	s_mul_hi_u32 s14, s16, s12
	s_add_i32 s13, s14, s13
	s_mul_i32 s14, s15, s12
	s_add_i32 s13, s13, s14
	s_mul_i32 s12, s16, s12
	s_lshl_b64 s[12:13], s[12:13], 1
	s_waitcnt lgkmcnt(0)
	s_add_u32 s16, s2, s12
	s_addc_u32 s17, s3, s13
	s_bfe_i64 s[14:15], s[0:1], 0x200000
	s_mul_i32 s1, s0, s11
	s_mul_hi_u32 s11, s0, s10
	s_add_i32 s1, s11, s1
	s_mul_i32 s11, s15, s10
	s_add_i32 s1, s1, s11
	s_mul_i32 s0, s0, s10
	s_lshl_b64 s[10:11], s[0:1], 1
	s_add_u32 s14, s16, s10
	s_mul_i32 s0, s18, s9
	s_mul_hi_u32 s1, s18, s8
	s_addc_u32 s15, s17, s11
	s_add_i32 s0, s1, s0
	s_mul_i32 s7, s7, s8
	s_add_i32 s1, s0, s7
	s_load_dword s7, s[4:5], 0x48
	s_load_dword s16, s[4:5], 0x5c
	s_mul_i32 s0, s18, s8
	s_lshl_b64 s[8:9], s[0:1], 1
	s_add_u32 s14, s14, s8
	s_addc_u32 s15, s15, s9
	s_waitcnt lgkmcnt(0)
	s_and_b32 s24, s16, 0xffff
	s_and_b32 s0, s14, 3
	s_mov_b32 s1, 0
	s_cmp_lg_u64 s[0:1], 0
	s_cselect_b64 s[0:1], -1, 0
	s_bitcmp1_b32 s7, 0
	s_cselect_b64 s[16:17], -1, 0
	s_or_b64 s[0:1], s[16:17], s[0:1]
	s_and_b64 vcc, exec, s[0:1]
	s_cbranch_vccz .LBB38_19
; %bb.7:
	s_sub_i32 s0, 0, s14
	s_bfe_u32 s0, s0, 0x10001
	s_min_i32 s0, s0, s7
	v_cmp_gt_i32_e32 vcc, s0, v0
	v_mov_b32_e32 v1, 0
	s_and_saveexec_b64 s[16:17], vcc
	s_cbranch_execz .LBB38_10
; %bb.8:
	s_lshl_b32 s1, s24, 1
	s_mov_b32 s20, 0
	v_mov_b32_e32 v2, 0
	s_mov_b64 s[18:19], s[14:15]
	v_mov_b32_e32 v1, 0
.LBB38_9:                               ; =>This Inner Loop Header: Depth=1
	global_load_ushort v3, v2, s[18:19]
	s_add_i32 s20, s20, s24
	s_add_u32 s18, s18, s1
	s_addc_u32 s19, s19, 0
	s_cmp_ge_i32 s20, s0
	s_waitcnt vmcnt(0)
	v_fma_mix_f32 v1, v3, v3, v1 op_sel_hi:[1,1,0]
	s_cbranch_scc0 .LBB38_9
.LBB38_10:
	s_or_b64 exec, exec, s[16:17]
	s_sub_i32 s20, s7, s0
	s_lshr_b32 s16, s20, 31
	s_add_i32 s16, s20, s16
	s_ashr_i32 s21, s16, 1
	s_ashr_i32 s1, s0, 31
	v_cmp_gt_i32_e32 vcc, s21, v0
	s_and_saveexec_b64 s[16:17], vcc
	s_cbranch_execz .LBB38_14
; %bb.11:
	s_add_u32 s18, s8, s12
	s_addc_u32 s19, s9, s13
	s_add_u32 s22, s18, s10
	s_addc_u32 s23, s19, s11
	s_lshl_b64 s[18:19], s[0:1], 1
	s_add_u32 s18, s2, s18
	s_addc_u32 s19, s3, s19
	s_add_u32 s18, s18, s22
	v_lshlrev_b32_e32 v2, 2, v0
	s_addc_u32 s19, s19, s23
	v_mov_b32_e32 v3, s19
	v_add_co_u32_e32 v2, vcc, s18, v2
	v_addc_co_u32_e32 v3, vcc, 0, v3, vcc
	s_mov_b32 s25, 0
	v_add_co_u32_e32 v2, vcc, 2, v2
	v_addc_co_u32_e32 v3, vcc, 0, v3, vcc
	s_lshl_b32 s22, s24, 2
	s_mov_b64 s[18:19], 0
	v_mov_b32_e32 v4, s25
	v_mov_b32_e32 v5, v0
.LBB38_12:                              ; =>This Inner Loop Header: Depth=1
	global_load_dword v6, v[2:3], off offset:-2
	v_add_co_u32_e32 v2, vcc, s22, v2
	v_add_u32_e32 v5, s24, v5
	v_addc_co_u32_e32 v3, vcc, v3, v4, vcc
	v_cmp_le_i32_e32 vcc, s21, v5
	s_or_b64 s[18:19], vcc, s[18:19]
	s_waitcnt vmcnt(0)
	v_fma_mix_f32 v1, v6, v6, v1 op_sel_hi:[1,1,0]
	v_fma_mix_f32 v1, v6, v6, v1 op_sel:[1,1,0] op_sel_hi:[1,1,0]
	s_andn2_b64 exec, exec, s[18:19]
	s_cbranch_execnz .LBB38_12
; %bb.13:
	s_or_b64 exec, exec, s[18:19]
.LBB38_14:
	s_or_b64 exec, exec, s[16:17]
	v_lshl_add_u32 v2, s21, 1, v0
	v_cmp_gt_i32_e32 vcc, s20, v2
	s_and_saveexec_b64 s[16:17], vcc
	s_cbranch_execz .LBB38_18
; %bb.15:
	s_add_u32 s18, s8, s12
	s_addc_u32 s19, s9, s13
	s_add_u32 s18, s18, s10
	s_addc_u32 s19, s19, s11
	s_lshl_b64 s[0:1], s[0:1], 1
	s_add_u32 s0, s18, s0
	s_addc_u32 s1, s19, s1
	v_ashrrev_i32_e32 v3, 31, v2
	s_add_u32 s0, s2, s0
	v_lshlrev_b64 v[4:5], 1, v[2:3]
	s_addc_u32 s1, s3, s1
	v_mov_b32_e32 v3, s1
	v_add_co_u32_e32 v4, vcc, s0, v4
	s_mov_b32 s19, 0
	v_addc_co_u32_e32 v5, vcc, v3, v5, vcc
	s_lshl_b32 s18, s24, 1
	s_mov_b64 s[0:1], 0
	v_mov_b32_e32 v3, s19
.LBB38_16:                              ; =>This Inner Loop Header: Depth=1
	global_load_ushort v6, v[4:5], off
	v_add_co_u32_e32 v4, vcc, s18, v4
	v_add_u32_e32 v2, s24, v2
	v_addc_co_u32_e32 v5, vcc, v5, v3, vcc
	v_cmp_le_i32_e32 vcc, s20, v2
	s_or_b64 s[0:1], vcc, s[0:1]
	s_waitcnt vmcnt(0)
	v_fma_mix_f32 v1, v6, v6, v1 op_sel_hi:[1,1,0]
	s_andn2_b64 exec, exec, s[0:1]
	s_cbranch_execnz .LBB38_16
; %bb.17:
	s_or_b64 exec, exec, s[0:1]
.LBB38_18:
	s_or_b64 exec, exec, s[16:17]
	s_branch .LBB38_25
.LBB38_19:
                                        ; implicit-def: $vgpr1
	s_cbranch_execz .LBB38_25
; %bb.20:
	s_ashr_i32 s18, s7, 1
	v_cmp_gt_i32_e32 vcc, s18, v0
	v_mov_b32_e32 v1, 0
	s_and_saveexec_b64 s[0:1], vcc
	s_cbranch_execz .LBB38_24
; %bb.21:
	s_add_u32 s16, s8, s12
	s_addc_u32 s17, s9, s13
	s_add_u32 s16, s16, s10
	s_addc_u32 s17, s17, s11
	s_add_u32 s16, s2, s16
	v_lshlrev_b32_e32 v1, 2, v0
	s_addc_u32 s17, s3, s17
	v_mov_b32_e32 v2, s17
	v_add_co_u32_e32 v1, vcc, s16, v1
	v_addc_co_u32_e32 v3, vcc, 0, v2, vcc
	s_mov_b32 s20, 0
	v_add_co_u32_e32 v2, vcc, 2, v1
	v_addc_co_u32_e32 v3, vcc, 0, v3, vcc
	s_lshl_b32 s19, s24, 2
	s_mov_b64 s[16:17], 0
	v_mov_b32_e32 v1, 0
	v_mov_b32_e32 v4, s20
	;; [unrolled: 1-line block ×3, first 2 shown]
.LBB38_22:                              ; =>This Inner Loop Header: Depth=1
	global_load_dword v6, v[2:3], off offset:-2
	v_add_co_u32_e32 v2, vcc, s19, v2
	v_add_u32_e32 v5, s24, v5
	v_addc_co_u32_e32 v3, vcc, v3, v4, vcc
	v_cmp_le_i32_e32 vcc, s18, v5
	s_or_b64 s[16:17], vcc, s[16:17]
	s_waitcnt vmcnt(0)
	v_fma_mix_f32 v1, v6, v6, v1 op_sel_hi:[1,1,0]
	v_fma_mix_f32 v1, v6, v6, v1 op_sel:[1,1,0] op_sel_hi:[1,1,0]
	s_andn2_b64 exec, exec, s[16:17]
	s_cbranch_execnz .LBB38_22
; %bb.23:
	s_or_b64 exec, exec, s[16:17]
.LBB38_24:
	s_or_b64 exec, exec, s[0:1]
.LBB38_25:
	v_mbcnt_lo_u32_b32 v2, -1, 0
	v_mbcnt_hi_u32_b32 v2, -1, v2
	v_and_b32_e32 v3, 63, v2
	v_cmp_ne_u32_e32 vcc, 63, v3
	v_addc_co_u32_e32 v4, vcc, 0, v2, vcc
	v_lshlrev_b32_e32 v4, 2, v4
	ds_bpermute_b32 v4, v4, v1
	v_and_b32_e32 v5, 0x3c0, v0
	v_sub_u32_e64 v5, s24, v5 clamp
	v_add_u32_e32 v6, 1, v2
	v_cmp_lt_u32_e32 vcc, v6, v5
	s_waitcnt lgkmcnt(0)
	v_add_f32_e32 v4, v1, v4
	v_cndmask_b32_e32 v1, v1, v4, vcc
	v_cmp_gt_u32_e32 vcc, 62, v3
	v_cndmask_b32_e64 v4, 0, 1, vcc
	v_lshlrev_b32_e32 v4, 1, v4
	v_add_lshl_u32 v4, v4, v2, 2
	ds_bpermute_b32 v4, v4, v1
	v_add_u32_e32 v6, 2, v2
	v_cmp_lt_u32_e32 vcc, v6, v5
	v_add_u32_e32 v6, 4, v2
	s_waitcnt lgkmcnt(0)
	v_add_f32_e32 v4, v1, v4
	v_cndmask_b32_e32 v1, v1, v4, vcc
	v_cmp_gt_u32_e32 vcc, 60, v3
	v_cndmask_b32_e64 v4, 0, 1, vcc
	v_lshlrev_b32_e32 v4, 2, v4
	v_add_lshl_u32 v4, v4, v2, 2
	ds_bpermute_b32 v4, v4, v1
	v_cmp_lt_u32_e32 vcc, v6, v5
	v_add_u32_e32 v6, 8, v2
	s_waitcnt lgkmcnt(0)
	v_add_f32_e32 v4, v1, v4
	v_cndmask_b32_e32 v1, v1, v4, vcc
	v_cmp_gt_u32_e32 vcc, 56, v3
	v_cndmask_b32_e64 v4, 0, 1, vcc
	v_lshlrev_b32_e32 v4, 3, v4
	v_add_lshl_u32 v4, v4, v2, 2
	ds_bpermute_b32 v4, v4, v1
	;; [unrolled: 10-line block ×3, first 2 shown]
	v_cmp_lt_u32_e32 vcc, v6, v5
	s_waitcnt lgkmcnt(0)
	v_add_f32_e32 v4, v1, v4
	v_cndmask_b32_e32 v1, v1, v4, vcc
	v_cmp_gt_u32_e32 vcc, 32, v3
	v_cndmask_b32_e64 v3, 0, 1, vcc
	v_lshlrev_b32_e32 v3, 5, v3
	v_add_lshl_u32 v3, v3, v2, 2
	ds_bpermute_b32 v3, v3, v1
	v_add_u32_e32 v4, 32, v2
	v_cmp_lt_u32_e32 vcc, v4, v5
	s_waitcnt lgkmcnt(0)
	v_add_f32_e32 v3, v1, v3
	v_cndmask_b32_e32 v1, v1, v3, vcc
	v_cmp_eq_u32_e32 vcc, 0, v2
	s_and_saveexec_b64 s[0:1], vcc
	s_cbranch_execz .LBB38_27
; %bb.26:
	v_lshrrev_b32_e32 v3, 4, v0
	v_and_b32_e32 v3, 60, v3
	ds_write_b32 v3, v1
.LBB38_27:
	s_or_b64 exec, exec, s[0:1]
	v_cmp_gt_u32_e32 vcc, 16, v0
	s_waitcnt lgkmcnt(0)
	s_barrier
	s_and_saveexec_b64 s[16:17], vcc
	s_cbranch_execz .LBB38_29
; %bb.28:
	v_lshlrev_b32_e32 v1, 2, v2
	ds_read_b32 v1, v1
	v_and_b32_e32 v3, 15, v2
	v_cmp_ne_u32_e32 vcc, 15, v3
	v_addc_co_u32_e32 v4, vcc, 0, v2, vcc
	v_lshlrev_b32_e32 v4, 2, v4
	s_waitcnt lgkmcnt(0)
	ds_bpermute_b32 v4, v4, v1
	s_add_i32 s0, s24, 63
	s_lshr_b32 s18, s0, 6
	v_add_u32_e32 v5, 1, v3
	v_cmp_gt_u32_e64 s[0:1], 14, v3
	v_cmp_gt_u32_e32 vcc, s18, v5
	v_cndmask_b32_e64 v5, 0, 1, s[0:1]
	s_waitcnt lgkmcnt(0)
	v_add_f32_e32 v4, v1, v4
	v_lshlrev_b32_e32 v5, 1, v5
	v_cndmask_b32_e32 v4, v1, v4, vcc
	v_add_lshl_u32 v5, v5, v2, 2
	ds_bpermute_b32 v5, v5, v4
	v_add_u32_e32 v6, 2, v3
	v_cmp_gt_u32_e64 s[0:1], s18, v6
	v_add_u32_e32 v6, 4, v3
	s_waitcnt lgkmcnt(0)
	v_add_f32_e32 v5, v4, v5
	v_cndmask_b32_e64 v4, v4, v5, s[0:1]
	v_cmp_gt_u32_e64 s[0:1], 12, v3
	v_cndmask_b32_e64 v5, 0, 1, s[0:1]
	v_lshlrev_b32_e32 v5, 2, v5
	v_add_lshl_u32 v5, v5, v2, 2
	ds_bpermute_b32 v5, v5, v4
	v_cmp_gt_u32_e64 s[0:1], s18, v6
	s_waitcnt lgkmcnt(0)
	v_add_f32_e32 v5, v4, v5
	v_cndmask_b32_e64 v4, v4, v5, s[0:1]
	v_cmp_gt_u32_e64 s[0:1], 8, v3
	v_cndmask_b32_e64 v5, 0, 1, s[0:1]
	v_lshlrev_b32_e32 v5, 3, v5
	v_add_lshl_u32 v2, v5, v2, 2
	ds_bpermute_b32 v2, v2, v4
	v_add_u32_e32 v3, 8, v3
	v_cmp_gt_u32_e64 s[0:1], s18, v3
	s_waitcnt lgkmcnt(0)
	v_add_f32_e32 v2, v4, v2
	v_cndmask_b32_e64 v2, v4, v2, s[0:1]
	v_cndmask_b32_e32 v1, v1, v2, vcc
.LBB38_29:
	s_or_b64 exec, exec, s[16:17]
	v_cmp_eq_u32_e32 vcc, 0, v0
	s_and_saveexec_b64 s[0:1], vcc
	s_cbranch_execz .LBB38_31
; %bb.30:
	v_cvt_f32_i32_e32 v2, s7
	s_load_dword s18, s[4:5], 0x40
	v_div_scale_f32 v3, s[16:17], v2, v2, v1
	v_rcp_f32_e32 v4, v3
	v_div_scale_f32 v5, vcc, v1, v2, v1
	s_mov_b32 s16, 0x800000
	v_fma_f32 v6, -v3, v4, 1.0
	v_fmac_f32_e32 v4, v6, v4
	v_mul_f32_e32 v6, v5, v4
	v_fma_f32 v7, -v3, v6, v5
	v_fmac_f32_e32 v6, v7, v4
	v_fma_f32 v3, -v3, v6, v5
	v_div_fmas_f32 v3, v3, v4, v6
	v_div_fixup_f32 v1, v3, v2, v1
	s_waitcnt lgkmcnt(0)
	v_add_f32_e32 v1, s18, v1
	v_mul_f32_e32 v2, 0x4b800000, v1
	v_cmp_gt_f32_e32 vcc, s16, v1
	v_cndmask_b32_e32 v1, v1, v2, vcc
	v_rsq_f32_e32 v1, v1
	v_mul_f32_e32 v2, 0x45800000, v1
	v_cndmask_b32_e32 v1, v1, v2, vcc
	v_mov_b32_e32 v2, 0
	ds_write_b32 v2, v1 offset:64
.LBB38_31:
	s_or_b64 exec, exec, s[0:1]
	s_lshr_b32 s0, s7, 31
	s_add_i32 s0, s7, s0
	s_ashr_i32 s25, s0, 1
	v_cmp_gt_i32_e32 vcc, s25, v0
	s_waitcnt lgkmcnt(0)
	s_barrier
	s_and_saveexec_b64 s[0:1], vcc
	s_cbranch_execz .LBB38_43
; %bb.32:
	v_cvt_f32_u32_e32 v1, s24
	v_add_u32_e32 v3, s24, v0
	v_mov_b32_e32 v5, s24
	v_cmp_gt_i32_e32 vcc, s25, v3
	v_rcp_iflag_f32_e32 v1, v1
	v_max_i32_e32 v4, s25, v3
	v_addc_co_u32_e64 v3, s[0:1], v0, v5, vcc
	v_mul_f32_e32 v1, 0x4f7ffffe, v1
	v_cvt_u32_f32_e32 v1, v1
	s_sub_i32 s0, 0, s24
	v_sub_u32_e32 v3, v4, v3
	v_mov_b32_e32 v2, 0
	v_mul_lo_u32 v4, s0, v1
	v_mul_hi_u32 v4, v1, v4
	v_add_u32_e32 v1, v1, v4
	v_mul_hi_u32 v1, v3, v1
	v_mul_lo_u32 v4, v1, s24
	v_sub_u32_e32 v3, v3, v4
	v_add_u32_e32 v4, 1, v1
	v_cmp_le_u32_e64 s[0:1], s24, v3
	v_cndmask_b32_e64 v1, v1, v4, s[0:1]
	v_subrev_u32_e32 v4, s24, v3
	v_cndmask_b32_e64 v3, v3, v4, s[0:1]
	s_load_dwordx2 s[16:17], s[4:5], 0x0
	s_load_dwordx2 s[18:19], s[4:5], 0x38
	ds_read_b32 v2, v2 offset:64
	v_add_u32_e32 v4, 1, v1
	v_cmp_le_u32_e64 s[0:1], s24, v3
	v_cndmask_b32_e64 v1, v1, v4, s[0:1]
	v_addc_co_u32_e32 v8, vcc, 1, v1, vcc
	s_cmp_lg_u32 s24, 1
	v_cmp_gt_u32_e32 vcc, 2, v8
	s_cselect_b64 s[0:1], -1, 0
	s_mul_i32 s4, s6, s7
	s_mov_b32 s5, 0
	s_or_b64 s[0:1], vcc, s[0:1]
	s_mov_b64 s[6:7], 0
	s_and_saveexec_b64 s[20:21], s[0:1]
	s_xor_b64 s[0:1], exec, s[20:21]
	s_cbranch_execnz .LBB38_37
; %bb.33:
	s_andn2_saveexec_b64 s[20:21], s[0:1]
	s_cbranch_execnz .LBB38_38
.LBB38_34:
	s_or_b64 exec, exec, s[20:21]
	s_and_b64 exec, exec, s[6:7]
	s_cbranch_execnz .LBB38_41
	s_branch .LBB38_43
.LBB38_35:
                                        ; implicit-def: $sgpr16_sgpr17
	s_branch .LBB38_2
.LBB38_36:
                                        ; implicit-def: $sgpr0_sgpr1
	s_branch .LBB38_5
.LBB38_37:
	s_mov_b64 s[6:7], exec
                                        ; implicit-def: $vgpr8
	s_andn2_saveexec_b64 s[20:21], s[0:1]
	s_cbranch_execz .LBB38_34
.LBB38_38:
	s_lshl_b64 s[0:1], s[4:5], 1
	s_waitcnt lgkmcnt(0)
	s_add_u32 s26, s16, s0
	s_addc_u32 s0, s17, s1
	v_and_b32_e32 v9, -2, v8
	v_add_u32_e32 v1, 1, v0
	v_mov_b32_e32 v3, v2
	s_mov_b64 s[22:23], 0
	v_mov_b32_e32 v10, s15
	v_mov_b32_e32 v11, s19
	s_mov_b32 s15, 0x5040100
	s_mov_b32 s27, 0x7060302
	v_mov_b32_e32 v12, s0
	v_mov_b32_e32 v5, 0
	;; [unrolled: 1-line block ×3, first 2 shown]
	v_pk_mov_b32 v[6:7], v[0:1], v[0:1] op_sel:[0,1]
.LBB38_39:                              ; =>This Inner Loop Header: Depth=1
	v_mov_b32_e32 v4, v6
	v_lshlrev_b64 v[14:15], 2, v[4:5]
	v_add_co_u32_e32 v16, vcc, s14, v14
	v_addc_co_u32_e32 v17, vcc, v10, v15, vcc
	v_mov_b32_e32 v4, v7
	v_add_co_u32_e32 v20, vcc, s18, v14
	v_lshlrev_b64 v[18:19], 2, v[4:5]
	v_addc_co_u32_e32 v21, vcc, v11, v15, vcc
	v_add_co_u32_e32 v22, vcc, s14, v18
	v_addc_co_u32_e32 v23, vcc, v10, v19, vcc
	v_add_co_u32_e32 v24, vcc, s18, v18
	v_addc_co_u32_e32 v25, vcc, v11, v19, vcc
	global_load_dword v1, v[16:17], off
	global_load_dword v4, v[20:21], off
	;; [unrolled: 1-line block ×4, first 2 shown]
	v_add_u32_e32 v13, -2, v13
	v_cmp_eq_u32_e32 vcc, 0, v13
	s_or_b64 s[22:23], vcc, s[22:23]
	v_add_co_u32_e32 v16, vcc, s26, v18
	v_addc_co_u32_e32 v17, vcc, v12, v19, vcc
	v_add_co_u32_e64 v14, s[0:1], s26, v14
	v_add_u32_e32 v6, 2, v6
	v_add_u32_e32 v7, 2, v7
	v_addc_co_u32_e64 v15, s[0:1], v12, v15, s[0:1]
	s_waitcnt vmcnt(3)
	v_cvt_f32_f16_e32 v18, v1
	v_cvt_f32_f16_sdwa v20, v1 dst_sel:DWORD dst_unused:UNUSED_PAD src0_sel:WORD_1
	s_waitcnt vmcnt(1)
	v_cvt_f32_f16_e32 v19, v26
	v_cvt_f32_f16_sdwa v21, v26 dst_sel:DWORD dst_unused:UNUSED_PAD src0_sel:WORD_1
	s_waitcnt vmcnt(0)
	v_perm_b32 v1, v27, v4, s15
	v_perm_b32 v4, v27, v4, s27
	v_pk_mul_f32 v[18:19], v[2:3], v[18:19]
	v_pk_mul_f32 v[20:21], v[2:3], v[20:21]
	v_cvt_f16_f32_e32 v19, v19
	v_cvt_f16_f32_e32 v18, v18
	;; [unrolled: 1-line block ×4, first 2 shown]
	v_pack_b32_f16 v18, v18, v19
	v_pk_mul_f16 v1, v1, v18
	v_pack_b32_f16 v19, v20, v21
	v_pk_mul_f16 v4, v4, v19
	v_pack_b32_f16 v18, v1, v4
	v_perm_b32 v1, v4, v1, s27
	global_store_dword v[14:15], v18, off
	global_store_dword v[16:17], v1, off
	s_andn2_b64 exec, exec, s[22:23]
	s_cbranch_execnz .LBB38_39
; %bb.40:
	s_or_b64 exec, exec, s[22:23]
	v_cmp_ne_u32_e32 vcc, v8, v9
	s_andn2_b64 s[0:1], s[6:7], exec
	s_and_b64 s[6:7], vcc, exec
	v_add_u32_e32 v0, v0, v9
	s_or_b64 s[6:7], s[0:1], s[6:7]
	s_or_b64 exec, exec, s[20:21]
	s_and_b64 exec, exec, s[6:7]
	s_cbranch_execz .LBB38_43
.LBB38_41:
	s_add_u32 s0, s8, s12
	s_addc_u32 s1, s9, s13
	s_add_u32 s0, s0, s10
	s_addc_u32 s1, s1, s11
	v_mov_b32_e32 v1, 0
	s_add_u32 s0, s2, s0
	v_lshlrev_b64 v[8:9], 2, v[0:1]
	s_addc_u32 s1, s3, s1
	v_mov_b32_e32 v4, s1
	v_add_co_u32_e32 v1, vcc, s0, v8
	v_addc_co_u32_e32 v4, vcc, v4, v9, vcc
	s_lshl_b32 s6, s24, 2
	s_lshl_b64 s[0:1], s[4:5], 1
	s_waitcnt lgkmcnt(0)
	v_mov_b32_e32 v6, s19
	v_add_co_u32_e32 v5, vcc, s18, v8
	s_add_u32 s0, s16, s0
	v_addc_co_u32_e32 v6, vcc, v6, v9, vcc
	s_addc_u32 s1, s17, s1
	v_mov_b32_e32 v10, s1
	v_add_co_u32_e32 v7, vcc, s0, v8
	v_mov_b32_e32 v3, v2
	v_addc_co_u32_e32 v8, vcc, v10, v9, vcc
	s_mov_b64 s[0:1], 0
	s_mov_b64 s[2:3], 0
.LBB38_42:                              ; =>This Inner Loop Header: Depth=1
	v_mov_b32_e32 v9, s3
	v_add_co_u32_e32 v10, vcc, s2, v1
	v_addc_co_u32_e32 v11, vcc, v4, v9, vcc
	global_load_dword v13, v[10:11], off
	v_add_co_u32_e32 v10, vcc, s2, v5
	v_addc_co_u32_e32 v11, vcc, v6, v9, vcc
	global_load_dword v14, v[10:11], off
	v_add_co_u32_e32 v10, vcc, s2, v7
	v_addc_co_u32_e32 v11, vcc, v8, v9, vcc
	v_add_u32_e32 v0, s24, v0
	s_add_u32 s2, s2, s6
	s_addc_u32 s3, s3, 0
	v_cmp_le_i32_e32 vcc, s25, v0
	s_or_b64 s[0:1], vcc, s[0:1]
	s_waitcnt vmcnt(1)
	v_cvt_f32_f16_e32 v12, v13
	v_cvt_f32_f16_sdwa v13, v13 dst_sel:DWORD dst_unused:UNUSED_PAD src0_sel:WORD_1
	v_pk_mul_f32 v[12:13], v[2:3], v[12:13]
	v_cvt_f16_f32_e32 v9, v13
	v_cvt_f16_f32_e32 v12, v12
	v_pack_b32_f16 v9, v12, v9
	s_waitcnt vmcnt(0)
	v_pk_mul_f16 v9, v14, v9
	global_store_dword v[10:11], v9, off
	s_andn2_b64 exec, exec, s[0:1]
	s_cbranch_execnz .LBB38_42
.LBB38_43:
	s_endpgm
	.section	.rodata,"a",@progbits
	.p2align	6, 0x0
	.amdhsa_kernel _ZN4vllm15rms_norm_kernelIN3c104HalfELi2ELi4EEEvPT_PKS3_lllllS6_fii
		.amdhsa_group_segment_fixed_size 68
		.amdhsa_private_segment_fixed_size 0
		.amdhsa_kernarg_size 336
		.amdhsa_user_sgpr_count 6
		.amdhsa_user_sgpr_private_segment_buffer 1
		.amdhsa_user_sgpr_dispatch_ptr 0
		.amdhsa_user_sgpr_queue_ptr 0
		.amdhsa_user_sgpr_kernarg_segment_ptr 1
		.amdhsa_user_sgpr_dispatch_id 0
		.amdhsa_user_sgpr_flat_scratch_init 0
		.amdhsa_user_sgpr_kernarg_preload_length 0
		.amdhsa_user_sgpr_kernarg_preload_offset 0
		.amdhsa_user_sgpr_private_segment_size 0
		.amdhsa_uses_dynamic_stack 0
		.amdhsa_system_sgpr_private_segment_wavefront_offset 0
		.amdhsa_system_sgpr_workgroup_id_x 1
		.amdhsa_system_sgpr_workgroup_id_y 0
		.amdhsa_system_sgpr_workgroup_id_z 0
		.amdhsa_system_sgpr_workgroup_info 0
		.amdhsa_system_vgpr_workitem_id 0
		.amdhsa_next_free_vgpr 28
		.amdhsa_next_free_sgpr 35
		.amdhsa_accum_offset 28
		.amdhsa_reserve_vcc 1
		.amdhsa_reserve_flat_scratch 0
		.amdhsa_float_round_mode_32 0
		.amdhsa_float_round_mode_16_64 0
		.amdhsa_float_denorm_mode_32 3
		.amdhsa_float_denorm_mode_16_64 3
		.amdhsa_dx10_clamp 1
		.amdhsa_ieee_mode 1
		.amdhsa_fp16_overflow 0
		.amdhsa_tg_split 0
		.amdhsa_exception_fp_ieee_invalid_op 0
		.amdhsa_exception_fp_denorm_src 0
		.amdhsa_exception_fp_ieee_div_zero 0
		.amdhsa_exception_fp_ieee_overflow 0
		.amdhsa_exception_fp_ieee_underflow 0
		.amdhsa_exception_fp_ieee_inexact 0
		.amdhsa_exception_int_div_zero 0
	.end_amdhsa_kernel
	.section	.text._ZN4vllm15rms_norm_kernelIN3c104HalfELi2ELi4EEEvPT_PKS3_lllllS6_fii,"axG",@progbits,_ZN4vllm15rms_norm_kernelIN3c104HalfELi2ELi4EEEvPT_PKS3_lllllS6_fii,comdat
.Lfunc_end38:
	.size	_ZN4vllm15rms_norm_kernelIN3c104HalfELi2ELi4EEEvPT_PKS3_lllllS6_fii, .Lfunc_end38-_ZN4vllm15rms_norm_kernelIN3c104HalfELi2ELi4EEEvPT_PKS3_lllllS6_fii
                                        ; -- End function
	.section	.AMDGPU.csdata,"",@progbits
; Kernel info:
; codeLenInByte = 3892
; NumSgprs: 39
; NumVgprs: 28
; NumAgprs: 0
; TotalNumVgprs: 28
; ScratchSize: 0
; MemoryBound: 0
; FloatMode: 240
; IeeeMode: 1
; LDSByteSize: 68 bytes/workgroup (compile time only)
; SGPRBlocks: 4
; VGPRBlocks: 3
; NumSGPRsForWavesPerEU: 39
; NumVGPRsForWavesPerEU: 28
; AccumOffset: 28
; Occupancy: 8
; WaveLimiterHint : 0
; COMPUTE_PGM_RSRC2:SCRATCH_EN: 0
; COMPUTE_PGM_RSRC2:USER_SGPR: 6
; COMPUTE_PGM_RSRC2:TRAP_HANDLER: 0
; COMPUTE_PGM_RSRC2:TGID_X_EN: 1
; COMPUTE_PGM_RSRC2:TGID_Y_EN: 0
; COMPUTE_PGM_RSRC2:TGID_Z_EN: 0
; COMPUTE_PGM_RSRC2:TIDIG_COMP_CNT: 0
; COMPUTE_PGM_RSRC3_GFX90A:ACCUM_OFFSET: 6
; COMPUTE_PGM_RSRC3_GFX90A:TG_SPLIT: 0
	.section	.text._ZN4vllm15rms_norm_kernelIN3c104HalfELi1ELi4EEEvPT_PKS3_lllllS6_fii,"axG",@progbits,_ZN4vllm15rms_norm_kernelIN3c104HalfELi1ELi4EEEvPT_PKS3_lllllS6_fii,comdat
	.protected	_ZN4vllm15rms_norm_kernelIN3c104HalfELi1ELi4EEEvPT_PKS3_lllllS6_fii ; -- Begin function _ZN4vllm15rms_norm_kernelIN3c104HalfELi1ELi4EEEvPT_PKS3_lllllS6_fii
	.globl	_ZN4vllm15rms_norm_kernelIN3c104HalfELi1ELi4EEEvPT_PKS3_lllllS6_fii
	.p2align	8
	.type	_ZN4vllm15rms_norm_kernelIN3c104HalfELi1ELi4EEEvPT_PKS3_lllllS6_fii,@function
_ZN4vllm15rms_norm_kernelIN3c104HalfELi1ELi4EEEvPT_PKS3_lllllS6_fii: ; @_ZN4vllm15rms_norm_kernelIN3c104HalfELi1ELi4EEEvPT_PKS3_lllllS6_fii
; %bb.0:
	s_load_dwordx8 s[8:15], s[4:5], 0x10
	s_load_dwordx2 s[2:3], s[4:5], 0x30
	s_mov_b32 s0, 0
	s_waitcnt lgkmcnt(0)
	s_mul_i32 s1, s2, s15
	s_mul_hi_u32 s7, s2, s14
	s_add_i32 s1, s7, s1
	s_mul_i32 s3, s3, s14
	s_add_i32 s1, s1, s3
	s_cmp_lg_u64 s[0:1], 0
	s_mul_i32 s7, s2, s14
	s_cbranch_scc0 .LBB39_28
; %bb.1:
	s_ashr_i32 s2, s1, 31
	s_add_u32 s0, s7, s2
	s_mov_b32 s3, s2
	s_addc_u32 s1, s1, s2
	s_xor_b64 s[16:17], s[0:1], s[2:3]
	v_cvt_f32_u32_e32 v1, s16
	v_cvt_f32_u32_e32 v2, s17
	s_sub_u32 s0, 0, s16
	s_subb_u32 s1, 0, s17
	v_madmk_f32 v1, v2, 0x4f800000, v1
	v_rcp_f32_e32 v1, v1
	v_mul_f32_e32 v1, 0x5f7ffffc, v1
	v_mul_f32_e32 v2, 0x2f800000, v1
	v_trunc_f32_e32 v2, v2
	v_madmk_f32 v1, v2, 0xcf800000, v1
	v_cvt_u32_f32_e32 v2, v2
	v_cvt_u32_f32_e32 v1, v1
	v_readfirstlane_b32 s20, v2
	v_readfirstlane_b32 s21, v1
	s_mul_i32 s22, s0, s20
	s_mul_hi_u32 s24, s0, s21
	s_mul_i32 s23, s1, s21
	s_add_i32 s22, s24, s22
	s_add_i32 s22, s22, s23
	s_mul_i32 s25, s0, s21
	s_mul_hi_u32 s23, s21, s22
	s_mul_i32 s24, s21, s22
	s_mul_hi_u32 s21, s21, s25
	s_add_u32 s21, s21, s24
	s_addc_u32 s23, 0, s23
	s_mul_hi_u32 s26, s20, s25
	s_mul_i32 s25, s20, s25
	s_add_u32 s21, s21, s25
	s_mul_hi_u32 s24, s20, s22
	s_addc_u32 s21, s23, s26
	s_addc_u32 s23, s24, 0
	s_mul_i32 s22, s20, s22
	s_add_u32 s21, s21, s22
	s_addc_u32 s22, 0, s23
	v_add_co_u32_e32 v1, vcc, s21, v1
	s_cmp_lg_u64 vcc, 0
	s_addc_u32 s20, s20, s22
	v_readfirstlane_b32 s22, v1
	s_mul_i32 s21, s0, s20
	s_mul_hi_u32 s23, s0, s22
	s_add_i32 s21, s23, s21
	s_mul_i32 s1, s1, s22
	s_add_i32 s21, s21, s1
	s_mul_i32 s0, s0, s22
	s_mul_hi_u32 s23, s20, s0
	s_mul_i32 s24, s20, s0
	s_mul_i32 s26, s22, s21
	s_mul_hi_u32 s0, s22, s0
	s_mul_hi_u32 s25, s22, s21
	s_add_u32 s0, s0, s26
	s_addc_u32 s22, 0, s25
	s_add_u32 s0, s0, s24
	s_mul_hi_u32 s1, s20, s21
	s_addc_u32 s0, s22, s23
	s_addc_u32 s1, s1, 0
	s_mul_i32 s21, s20, s21
	s_add_u32 s0, s0, s21
	s_addc_u32 s1, 0, s1
	v_add_co_u32_e32 v1, vcc, s0, v1
	s_cmp_lg_u64 vcc, 0
	s_addc_u32 s0, s20, s1
	v_readfirstlane_b32 s20, v1
	s_mul_hi_u32 s1, s6, s0
	s_mul_i32 s0, s6, s0
	s_mul_hi_u32 s20, s6, s20
	s_add_u32 s0, s20, s0
	s_addc_u32 s1, 0, s1
	s_add_u32 s0, s0, 0
	s_addc_u32 s0, s1, 0
	s_addc_u32 s1, 0, 0
	s_add_u32 s20, s0, 0
	s_addc_u32 s21, 0, s1
	s_mul_i32 s0, s16, s21
	s_mul_hi_u32 s1, s16, s20
	s_add_i32 s0, s1, s0
	s_mul_i32 s1, s17, s20
	s_add_i32 s22, s0, s1
	s_mul_i32 s1, s16, s20
	v_mov_b32_e32 v1, s1
	s_sub_i32 s0, 0, s22
	v_sub_co_u32_e32 v1, vcc, s6, v1
	s_cmp_lg_u64 vcc, 0
	s_subb_u32 s23, s0, s17
	v_subrev_co_u32_e64 v2, s[0:1], s16, v1
	s_cmp_lg_u64 s[0:1], 0
	s_subb_u32 s0, s23, 0
	s_cmp_ge_u32 s0, s17
	v_readfirstlane_b32 s23, v2
	s_cselect_b32 s1, -1, 0
	s_cmp_ge_u32 s23, s16
	s_cselect_b32 s23, -1, 0
	s_cmp_eq_u32 s0, s17
	s_cselect_b32 s0, s23, s1
	s_add_u32 s1, s20, 1
	s_addc_u32 s23, s21, 0
	s_add_u32 s24, s20, 2
	s_addc_u32 s25, s21, 0
	s_cmp_lg_u32 s0, 0
	s_cselect_b32 s0, s24, s1
	s_cselect_b32 s1, s25, s23
	s_cmp_lg_u64 vcc, 0
	s_subb_u32 s22, 0, s22
	s_cmp_ge_u32 s22, s17
	v_readfirstlane_b32 s24, v1
	s_cselect_b32 s23, -1, 0
	s_cmp_ge_u32 s24, s16
	s_cselect_b32 s16, -1, 0
	s_cmp_eq_u32 s22, s17
	s_cselect_b32 s16, s16, s23
	s_cmp_lg_u32 s16, 0
	s_cselect_b32 s1, s1, s21
	s_cselect_b32 s0, s0, s20
	s_xor_b64 s[0:1], s[0:1], s[2:3]
	s_sub_u32 s16, s0, s2
	s_subb_u32 s17, s1, s2
	s_cbranch_execnz .LBB39_3
.LBB39_2:
	v_cvt_f32_u32_e32 v1, s7
	s_sub_i32 s0, 0, s7
	s_mov_b32 s17, 0
	v_rcp_iflag_f32_e32 v1, v1
	v_mul_f32_e32 v1, 0x4f7ffffe, v1
	v_cvt_u32_f32_e32 v1, v1
	v_readfirstlane_b32 s1, v1
	s_mul_i32 s0, s0, s1
	s_mul_hi_u32 s0, s1, s0
	s_add_i32 s1, s1, s0
	s_mul_hi_u32 s0, s6, s1
	s_mul_i32 s2, s0, s7
	s_sub_i32 s2, s6, s2
	s_add_i32 s1, s0, 1
	s_sub_i32 s3, s2, s7
	s_cmp_ge_u32 s2, s7
	s_cselect_b32 s0, s1, s0
	s_cselect_b32 s2, s3, s2
	s_add_i32 s1, s0, 1
	s_cmp_ge_u32 s2, s7
	s_cselect_b32 s16, s1, s0
.LBB39_3:
	s_mul_i32 s0, s16, s7
	s_load_dwordx2 s[2:3], s[4:5], 0x8
	s_sub_i32 s18, s6, s0
	s_ashr_i32 s19, s18, 31
	s_or_b64 s[0:1], s[18:19], s[14:15]
	s_mov_b32 s0, 0
	s_cmp_lg_u64 s[0:1], 0
	s_cbranch_scc0 .LBB39_29
; %bb.4:
	s_ashr_i32 s20, s15, 31
	s_add_u32 s0, s14, s20
	s_mov_b32 s21, s20
	s_addc_u32 s1, s15, s20
	s_xor_b64 s[24:25], s[0:1], s[20:21]
	v_cvt_f32_u32_e32 v1, s24
	v_cvt_f32_u32_e32 v2, s25
	s_sub_u32 s0, 0, s24
	s_subb_u32 s1, 0, s25
	v_madmk_f32 v1, v2, 0x4f800000, v1
	v_rcp_f32_e32 v1, v1
	v_mul_f32_e32 v1, 0x5f7ffffc, v1
	v_mul_f32_e32 v2, 0x2f800000, v1
	v_trunc_f32_e32 v2, v2
	v_madmk_f32 v1, v2, 0xcf800000, v1
	v_cvt_u32_f32_e32 v2, v2
	v_cvt_u32_f32_e32 v1, v1
	v_readfirstlane_b32 s7, v2
	v_readfirstlane_b32 s26, v1
	s_mul_i32 s27, s0, s7
	s_mul_hi_u32 s29, s0, s26
	s_mul_i32 s28, s1, s26
	s_add_i32 s27, s29, s27
	s_add_i32 s27, s27, s28
	s_mul_i32 s30, s0, s26
	s_mul_hi_u32 s28, s26, s27
	s_mul_i32 s29, s26, s27
	s_mul_hi_u32 s26, s26, s30
	s_add_u32 s26, s26, s29
	s_addc_u32 s28, 0, s28
	s_mul_hi_u32 s31, s7, s30
	s_mul_i32 s30, s7, s30
	s_add_u32 s26, s26, s30
	s_mul_hi_u32 s29, s7, s27
	s_addc_u32 s26, s28, s31
	s_addc_u32 s28, s29, 0
	s_mul_i32 s27, s7, s27
	s_add_u32 s26, s26, s27
	s_addc_u32 s27, 0, s28
	v_add_co_u32_e32 v1, vcc, s26, v1
	s_cmp_lg_u64 vcc, 0
	s_addc_u32 s7, s7, s27
	v_readfirstlane_b32 s27, v1
	s_mul_i32 s26, s0, s7
	s_mul_hi_u32 s28, s0, s27
	s_add_i32 s26, s28, s26
	s_mul_i32 s1, s1, s27
	s_add_i32 s26, s26, s1
	s_mul_i32 s0, s0, s27
	s_mul_hi_u32 s28, s7, s0
	s_mul_i32 s29, s7, s0
	s_mul_i32 s31, s27, s26
	s_mul_hi_u32 s0, s27, s0
	s_mul_hi_u32 s30, s27, s26
	s_add_u32 s0, s0, s31
	s_addc_u32 s27, 0, s30
	s_add_u32 s0, s0, s29
	s_mul_hi_u32 s1, s7, s26
	s_addc_u32 s0, s27, s28
	s_addc_u32 s1, s1, 0
	s_mul_i32 s26, s7, s26
	s_add_u32 s0, s0, s26
	s_addc_u32 s1, 0, s1
	v_add_co_u32_e32 v1, vcc, s0, v1
	s_cmp_lg_u64 vcc, 0
	s_addc_u32 s7, s7, s1
	s_add_u32 s0, s18, s19
	s_mov_b32 s26, s19
	s_mov_b32 s27, s19
	s_addc_u32 s1, s19, s19
	s_xor_b64 s[28:29], s[0:1], s[26:27]
	v_readfirstlane_b32 s30, v1
	s_mul_i32 s1, s28, s7
	s_mul_hi_u32 s31, s28, s30
	s_mul_hi_u32 s0, s28, s7
	s_add_u32 s1, s31, s1
	s_addc_u32 s0, 0, s0
	s_mul_hi_u32 s33, s29, s30
	s_mul_i32 s30, s29, s30
	s_add_u32 s1, s1, s30
	s_mul_hi_u32 s31, s29, s7
	s_addc_u32 s0, s0, s33
	s_addc_u32 s1, s31, 0
	s_mul_i32 s7, s29, s7
	s_add_u32 s7, s0, s7
	s_addc_u32 s30, 0, s1
	s_mul_i32 s0, s24, s30
	s_mul_hi_u32 s1, s24, s7
	s_add_i32 s0, s1, s0
	s_mul_i32 s1, s25, s7
	s_add_i32 s31, s0, s1
	s_mul_i32 s1, s24, s7
	v_mov_b32_e32 v1, s1
	s_sub_i32 s0, s29, s31
	v_sub_co_u32_e32 v1, vcc, s28, v1
	s_cmp_lg_u64 vcc, 0
	s_subb_u32 s28, s0, s25
	v_subrev_co_u32_e64 v2, s[0:1], s24, v1
	s_cmp_lg_u64 s[0:1], 0
	s_subb_u32 s0, s28, 0
	s_cmp_ge_u32 s0, s25
	v_readfirstlane_b32 s28, v2
	s_cselect_b32 s1, -1, 0
	s_cmp_ge_u32 s28, s24
	s_cselect_b32 s28, -1, 0
	s_cmp_eq_u32 s0, s25
	s_cselect_b32 s0, s28, s1
	s_add_u32 s1, s7, 1
	s_addc_u32 s28, s30, 0
	s_add_u32 s33, s7, 2
	s_addc_u32 s34, s30, 0
	s_cmp_lg_u32 s0, 0
	s_cselect_b32 s0, s33, s1
	s_cselect_b32 s1, s34, s28
	s_cmp_lg_u64 vcc, 0
	s_subb_u32 s28, s29, s31
	s_cmp_ge_u32 s28, s25
	v_readfirstlane_b32 s31, v1
	s_cselect_b32 s29, -1, 0
	s_cmp_ge_u32 s31, s24
	s_cselect_b32 s24, -1, 0
	s_cmp_eq_u32 s28, s25
	s_cselect_b32 s24, s24, s29
	s_cmp_lg_u32 s24, 0
	s_cselect_b32 s1, s1, s30
	s_cselect_b32 s0, s0, s7
	s_xor_b64 s[20:21], s[26:27], s[20:21]
	s_xor_b64 s[0:1], s[0:1], s[20:21]
	s_sub_u32 s0, s0, s20
	s_subb_u32 s1, s1, s21
	s_cbranch_execnz .LBB39_6
.LBB39_5:
	v_cvt_f32_u32_e32 v1, s14
	s_sub_i32 s0, 0, s14
	s_mov_b32 s1, 0
	v_rcp_iflag_f32_e32 v1, v1
	v_mul_f32_e32 v1, 0x4f7ffffe, v1
	v_cvt_u32_f32_e32 v1, v1
	v_readfirstlane_b32 s7, v1
	s_mul_i32 s0, s0, s7
	s_mul_hi_u32 s0, s7, s0
	s_add_i32 s7, s7, s0
	s_mul_hi_u32 s0, s18, s7
	s_mul_i32 s20, s0, s14
	s_sub_i32 s20, s18, s20
	s_add_i32 s7, s0, 1
	s_sub_i32 s21, s20, s14
	s_cmp_ge_u32 s20, s14
	s_cselect_b32 s0, s7, s0
	s_cselect_b32 s20, s21, s20
	s_add_i32 s7, s0, 1
	s_cmp_ge_u32 s20, s14
	s_cselect_b32 s0, s7, s0
.LBB39_6:
	s_mul_i32 s7, s0, s15
	s_mul_hi_u32 s15, s0, s14
	s_add_i32 s7, s15, s7
	s_mul_i32 s15, s1, s14
	s_add_i32 s7, s7, s15
	s_mul_i32 s14, s0, s14
	s_sub_u32 s18, s18, s14
	s_subb_u32 s7, s19, s7
	s_bfe_i64 s[14:15], s[16:17], 0x200000
	s_mul_i32 s13, s16, s13
	s_mul_hi_u32 s14, s16, s12
	s_add_i32 s13, s14, s13
	s_mul_i32 s14, s15, s12
	s_add_i32 s13, s13, s14
	s_mul_i32 s12, s16, s12
	s_lshl_b64 s[12:13], s[12:13], 1
	s_waitcnt lgkmcnt(0)
	s_add_u32 s16, s2, s12
	s_addc_u32 s17, s3, s13
	s_bfe_i64 s[14:15], s[0:1], 0x200000
	s_mul_i32 s1, s0, s11
	s_mul_hi_u32 s11, s0, s10
	s_add_i32 s1, s11, s1
	s_mul_i32 s11, s15, s10
	s_add_i32 s1, s1, s11
	s_mul_i32 s0, s0, s10
	s_lshl_b64 s[10:11], s[0:1], 1
	s_add_u32 s14, s16, s10
	s_mul_i32 s0, s18, s9
	s_mul_hi_u32 s1, s18, s8
	s_addc_u32 s15, s17, s11
	s_add_i32 s0, s1, s0
	s_mul_i32 s7, s7, s8
	s_add_i32 s1, s0, s7
	s_load_dword s7, s[4:5], 0x48
	s_load_dword s17, s[4:5], 0x5c
	s_mul_i32 s0, s18, s8
	s_lshl_b64 s[8:9], s[0:1], 1
	s_add_u32 s16, s14, s8
	s_addc_u32 s18, s15, s9
	s_waitcnt lgkmcnt(0)
	s_and_b32 s17, s17, 0xffff
	s_bitcmp1_b32 s16, 0
	s_cselect_b64 s[0:1], -1, 0
	s_and_b64 vcc, exec, s[0:1]
	s_cbranch_vccz .LBB39_12
; %bb.7:
	s_min_i32 s14, s7, 0
	s_sub_i32 s19, s7, s14
	s_mov_b32 s20, 0
	v_cmp_gt_i32_e32 vcc, s19, v0
	v_mov_b32_e32 v4, 0
	s_and_saveexec_b64 s[0:1], vcc
	s_cbranch_execz .LBB39_11
; %bb.8:
	s_ashr_i32 s15, s14, 31
	s_add_u32 s21, s8, s12
	s_addc_u32 s22, s9, s13
	s_add_u32 s21, s21, s10
	s_addc_u32 s22, s22, s11
	s_lshl_b64 s[14:15], s[14:15], 1
	s_add_u32 s14, s21, s14
	s_addc_u32 s15, s22, s15
	s_add_u32 s14, s2, s14
	v_lshlrev_b32_e32 v1, 1, v0
	s_addc_u32 s15, s3, s15
	v_mov_b32_e32 v3, s15
	v_add_co_u32_e32 v2, vcc, s14, v1
	v_addc_co_u32_e32 v3, vcc, 0, v3, vcc
	s_lshl_b32 s21, s17, 1
	s_mov_b64 s[14:15], 0
	v_mov_b32_e32 v4, 0
	v_mov_b32_e32 v1, s20
	;; [unrolled: 1-line block ×3, first 2 shown]
.LBB39_9:                               ; =>This Inner Loop Header: Depth=1
	global_load_ushort v6, v[2:3], off
	v_add_co_u32_e32 v2, vcc, s21, v2
	v_add_u32_e32 v5, s17, v5
	v_addc_co_u32_e32 v3, vcc, v3, v1, vcc
	v_cmp_le_i32_e32 vcc, s19, v5
	s_or_b64 s[14:15], vcc, s[14:15]
	s_waitcnt vmcnt(0)
	v_fma_mix_f32 v4, v6, v6, v4 op_sel_hi:[1,1,0]
	s_andn2_b64 exec, exec, s[14:15]
	s_cbranch_execnz .LBB39_9
; %bb.10:
	s_or_b64 exec, exec, s[14:15]
.LBB39_11:
	s_or_b64 exec, exec, s[0:1]
	v_cmp_gt_i32_e64 s[0:1], s7, v0
	s_cbranch_execz .LBB39_13
	s_branch .LBB39_18
.LBB39_12:
                                        ; implicit-def: $vgpr4
	v_cmp_gt_i32_e64 s[0:1], s7, v0
.LBB39_13:
	v_mov_b32_e32 v4, 0
	s_and_saveexec_b64 s[14:15], s[0:1]
	s_cbranch_execz .LBB39_17
; %bb.14:
	s_add_u32 s0, s8, s12
	s_addc_u32 s1, s9, s13
	s_add_u32 s0, s0, s10
	s_addc_u32 s1, s1, s11
	s_add_u32 s0, s2, s0
	v_lshlrev_b32_e32 v1, 1, v0
	s_addc_u32 s1, s3, s1
	s_mov_b32 s8, 0
	v_mov_b32_e32 v3, s1
	v_add_co_u32_e32 v2, vcc, s0, v1
	v_addc_co_u32_e32 v3, vcc, 0, v3, vcc
	s_lshl_b32 s2, s17, 1
	s_mov_b64 s[0:1], 0
	v_mov_b32_e32 v4, 0
	v_mov_b32_e32 v1, s8
	v_mov_b32_e32 v5, v0
.LBB39_15:                              ; =>This Inner Loop Header: Depth=1
	global_load_ushort v6, v[2:3], off
	v_add_co_u32_e32 v2, vcc, s2, v2
	v_add_u32_e32 v5, s17, v5
	v_addc_co_u32_e32 v3, vcc, v3, v1, vcc
	v_cmp_le_i32_e32 vcc, s7, v5
	s_or_b64 s[0:1], vcc, s[0:1]
	s_waitcnt vmcnt(0)
	v_fma_mix_f32 v4, v6, v6, v4 op_sel_hi:[1,1,0]
	s_andn2_b64 exec, exec, s[0:1]
	s_cbranch_execnz .LBB39_15
; %bb.16:
	s_or_b64 exec, exec, s[0:1]
.LBB39_17:
	s_or_b64 exec, exec, s[14:15]
.LBB39_18:
	v_mbcnt_lo_u32_b32 v1, -1, 0
	v_mbcnt_hi_u32_b32 v1, -1, v1
	v_and_b32_e32 v2, 63, v1
	v_cmp_ne_u32_e32 vcc, 63, v2
	v_addc_co_u32_e32 v3, vcc, 0, v1, vcc
	v_lshlrev_b32_e32 v3, 2, v3
	ds_bpermute_b32 v3, v3, v4
	v_and_b32_e32 v5, 0x3c0, v0
	v_sub_u32_e64 v5, s17, v5 clamp
	v_add_u32_e32 v6, 1, v1
	v_cmp_lt_u32_e32 vcc, v6, v5
	s_waitcnt lgkmcnt(0)
	v_add_f32_e32 v3, v4, v3
	v_cndmask_b32_e32 v3, v4, v3, vcc
	v_cmp_gt_u32_e32 vcc, 62, v2
	v_cndmask_b32_e64 v4, 0, 1, vcc
	v_lshlrev_b32_e32 v4, 1, v4
	v_add_lshl_u32 v4, v4, v1, 2
	ds_bpermute_b32 v4, v4, v3
	v_add_u32_e32 v6, 2, v1
	v_cmp_lt_u32_e32 vcc, v6, v5
	v_add_u32_e32 v6, 4, v1
	s_waitcnt lgkmcnt(0)
	v_add_f32_e32 v4, v3, v4
	v_cndmask_b32_e32 v3, v3, v4, vcc
	v_cmp_gt_u32_e32 vcc, 60, v2
	v_cndmask_b32_e64 v4, 0, 1, vcc
	v_lshlrev_b32_e32 v4, 2, v4
	v_add_lshl_u32 v4, v4, v1, 2
	ds_bpermute_b32 v4, v4, v3
	v_cmp_lt_u32_e32 vcc, v6, v5
	v_add_u32_e32 v6, 8, v1
	s_waitcnt lgkmcnt(0)
	v_add_f32_e32 v4, v3, v4
	v_cndmask_b32_e32 v3, v3, v4, vcc
	v_cmp_gt_u32_e32 vcc, 56, v2
	v_cndmask_b32_e64 v4, 0, 1, vcc
	v_lshlrev_b32_e32 v4, 3, v4
	v_add_lshl_u32 v4, v4, v1, 2
	ds_bpermute_b32 v4, v4, v3
	v_cmp_lt_u32_e32 vcc, v6, v5
	v_add_u32_e32 v6, 16, v1
	s_waitcnt lgkmcnt(0)
	v_add_f32_e32 v4, v3, v4
	v_cndmask_b32_e32 v3, v3, v4, vcc
	v_cmp_gt_u32_e32 vcc, 48, v2
	v_cndmask_b32_e64 v4, 0, 1, vcc
	v_lshlrev_b32_e32 v4, 4, v4
	v_add_lshl_u32 v4, v4, v1, 2
	ds_bpermute_b32 v4, v4, v3
	v_cmp_lt_u32_e32 vcc, v6, v5
	s_waitcnt lgkmcnt(0)
	v_add_f32_e32 v4, v3, v4
	v_cndmask_b32_e32 v3, v3, v4, vcc
	v_cmp_gt_u32_e32 vcc, 32, v2
	v_cndmask_b32_e64 v2, 0, 1, vcc
	v_lshlrev_b32_e32 v2, 5, v2
	v_add_lshl_u32 v2, v2, v1, 2
	ds_bpermute_b32 v2, v2, v3
	v_add_u32_e32 v4, 32, v1
	v_cmp_lt_u32_e32 vcc, v4, v5
	s_waitcnt lgkmcnt(0)
	v_add_f32_e32 v2, v3, v2
	v_cndmask_b32_e32 v2, v3, v2, vcc
	v_cmp_eq_u32_e32 vcc, 0, v1
	s_and_saveexec_b64 s[0:1], vcc
	s_cbranch_execz .LBB39_20
; %bb.19:
	v_lshrrev_b32_e32 v3, 4, v0
	v_and_b32_e32 v3, 60, v3
	ds_write_b32 v3, v2
.LBB39_20:
	s_or_b64 exec, exec, s[0:1]
	v_cmp_gt_u32_e32 vcc, 16, v0
	s_waitcnt lgkmcnt(0)
	s_barrier
	s_and_saveexec_b64 s[2:3], vcc
	s_cbranch_execz .LBB39_22
; %bb.21:
	v_lshlrev_b32_e32 v2, 2, v1
	ds_read_b32 v2, v2
	v_and_b32_e32 v3, 15, v1
	v_cmp_ne_u32_e32 vcc, 15, v3
	v_addc_co_u32_e32 v4, vcc, 0, v1, vcc
	v_lshlrev_b32_e32 v4, 2, v4
	s_waitcnt lgkmcnt(0)
	ds_bpermute_b32 v4, v4, v2
	s_add_i32 s0, s17, 63
	s_lshr_b32 s8, s0, 6
	v_add_u32_e32 v5, 1, v3
	v_cmp_gt_u32_e64 s[0:1], 14, v3
	v_cmp_gt_u32_e32 vcc, s8, v5
	v_cndmask_b32_e64 v5, 0, 1, s[0:1]
	s_waitcnt lgkmcnt(0)
	v_add_f32_e32 v4, v2, v4
	v_lshlrev_b32_e32 v5, 1, v5
	v_cndmask_b32_e32 v4, v2, v4, vcc
	v_add_lshl_u32 v5, v5, v1, 2
	ds_bpermute_b32 v5, v5, v4
	v_add_u32_e32 v6, 2, v3
	v_cmp_gt_u32_e64 s[0:1], s8, v6
	v_add_u32_e32 v6, 4, v3
	s_waitcnt lgkmcnt(0)
	v_add_f32_e32 v5, v4, v5
	v_cndmask_b32_e64 v4, v4, v5, s[0:1]
	v_cmp_gt_u32_e64 s[0:1], 12, v3
	v_cndmask_b32_e64 v5, 0, 1, s[0:1]
	v_lshlrev_b32_e32 v5, 2, v5
	v_add_lshl_u32 v5, v5, v1, 2
	ds_bpermute_b32 v5, v5, v4
	v_cmp_gt_u32_e64 s[0:1], s8, v6
	s_waitcnt lgkmcnt(0)
	v_add_f32_e32 v5, v4, v5
	v_cndmask_b32_e64 v4, v4, v5, s[0:1]
	v_cmp_gt_u32_e64 s[0:1], 8, v3
	v_cndmask_b32_e64 v5, 0, 1, s[0:1]
	v_lshlrev_b32_e32 v5, 3, v5
	v_add_lshl_u32 v1, v5, v1, 2
	ds_bpermute_b32 v1, v1, v4
	v_add_u32_e32 v3, 8, v3
	v_cmp_gt_u32_e64 s[0:1], s8, v3
	s_waitcnt lgkmcnt(0)
	v_add_f32_e32 v1, v4, v1
	v_cndmask_b32_e64 v1, v4, v1, s[0:1]
	v_cndmask_b32_e32 v2, v2, v1, vcc
.LBB39_22:
	s_or_b64 exec, exec, s[2:3]
	v_cmp_eq_u32_e32 vcc, 0, v0
	s_and_saveexec_b64 s[0:1], vcc
	s_cbranch_execz .LBB39_24
; %bb.23:
	v_cvt_f32_i32_e32 v1, s7
	s_load_dword s8, s[4:5], 0x40
	v_div_scale_f32 v3, s[2:3], v1, v1, v2
	v_rcp_f32_e32 v4, v3
	v_div_scale_f32 v5, vcc, v2, v1, v2
	s_mov_b32 s2, 0x800000
	v_fma_f32 v6, -v3, v4, 1.0
	v_fmac_f32_e32 v4, v6, v4
	v_mul_f32_e32 v6, v5, v4
	v_fma_f32 v7, -v3, v6, v5
	v_fmac_f32_e32 v6, v7, v4
	v_fma_f32 v3, -v3, v6, v5
	v_div_fmas_f32 v3, v3, v4, v6
	v_div_fixup_f32 v1, v3, v1, v2
	s_waitcnt lgkmcnt(0)
	v_add_f32_e32 v1, s8, v1
	v_mul_f32_e32 v2, 0x4b800000, v1
	v_cmp_gt_f32_e32 vcc, s2, v1
	v_cndmask_b32_e32 v1, v1, v2, vcc
	v_rsq_f32_e32 v1, v1
	v_mul_f32_e32 v2, 0x45800000, v1
	v_cndmask_b32_e32 v1, v1, v2, vcc
	v_mov_b32_e32 v2, 0
	ds_write_b32 v2, v1 offset:64
.LBB39_24:
	s_or_b64 exec, exec, s[0:1]
	v_cmp_gt_i32_e32 vcc, s7, v0
	s_waitcnt lgkmcnt(0)
	s_barrier
	s_and_saveexec_b64 s[0:1], vcc
	s_cbranch_execz .LBB39_27
; %bb.25:
	s_load_dwordx2 s[2:3], s[4:5], 0x0
	s_load_dwordx2 s[0:1], s[4:5], 0x38
	v_mov_b32_e32 v1, 0
	s_mul_i32 s4, s6, s7
	s_mov_b32 s5, 0
	ds_read_b32 v2, v1 offset:64
	s_lshl_b64 s[4:5], s[4:5], 1
	s_waitcnt lgkmcnt(0)
	s_add_u32 s4, s2, s4
	s_addc_u32 s5, s3, s5
	s_mov_b64 s[2:3], 0
	v_mov_b32_e32 v3, s18
	v_mov_b32_e32 v4, s1
	;; [unrolled: 1-line block ×3, first 2 shown]
.LBB39_26:                              ; =>This Inner Loop Header: Depth=1
	v_ashrrev_i32_e32 v1, 31, v0
	v_lshlrev_b64 v[6:7], 1, v[0:1]
	v_add_co_u32_e32 v8, vcc, s16, v6
	v_addc_co_u32_e32 v9, vcc, v3, v7, vcc
	global_load_ushort v1, v[8:9], off
	v_add_co_u32_e32 v8, vcc, s0, v6
	v_addc_co_u32_e32 v9, vcc, v4, v7, vcc
	global_load_ushort v8, v[8:9], off
	v_add_co_u32_e32 v6, vcc, s4, v6
	v_add_u32_e32 v0, s17, v0
	v_addc_co_u32_e32 v7, vcc, v5, v7, vcc
	v_cmp_le_i32_e32 vcc, s7, v0
	s_or_b64 s[2:3], vcc, s[2:3]
	s_waitcnt vmcnt(1)
	v_fma_mixlo_f16 v1, v2, v1, 0 op_sel_hi:[0,1,0]
	s_waitcnt vmcnt(0)
	v_mul_f16_e32 v1, v8, v1
	global_store_short v[6:7], v1, off
	s_andn2_b64 exec, exec, s[2:3]
	s_cbranch_execnz .LBB39_26
.LBB39_27:
	s_endpgm
.LBB39_28:
                                        ; implicit-def: $sgpr16_sgpr17
	s_branch .LBB39_2
.LBB39_29:
                                        ; implicit-def: $sgpr0_sgpr1
	s_branch .LBB39_5
	.section	.rodata,"a",@progbits
	.p2align	6, 0x0
	.amdhsa_kernel _ZN4vllm15rms_norm_kernelIN3c104HalfELi1ELi4EEEvPT_PKS3_lllllS6_fii
		.amdhsa_group_segment_fixed_size 68
		.amdhsa_private_segment_fixed_size 0
		.amdhsa_kernarg_size 336
		.amdhsa_user_sgpr_count 6
		.amdhsa_user_sgpr_private_segment_buffer 1
		.amdhsa_user_sgpr_dispatch_ptr 0
		.amdhsa_user_sgpr_queue_ptr 0
		.amdhsa_user_sgpr_kernarg_segment_ptr 1
		.amdhsa_user_sgpr_dispatch_id 0
		.amdhsa_user_sgpr_flat_scratch_init 0
		.amdhsa_user_sgpr_kernarg_preload_length 0
		.amdhsa_user_sgpr_kernarg_preload_offset 0
		.amdhsa_user_sgpr_private_segment_size 0
		.amdhsa_uses_dynamic_stack 0
		.amdhsa_system_sgpr_private_segment_wavefront_offset 0
		.amdhsa_system_sgpr_workgroup_id_x 1
		.amdhsa_system_sgpr_workgroup_id_y 0
		.amdhsa_system_sgpr_workgroup_id_z 0
		.amdhsa_system_sgpr_workgroup_info 0
		.amdhsa_system_vgpr_workitem_id 0
		.amdhsa_next_free_vgpr 10
		.amdhsa_next_free_sgpr 35
		.amdhsa_accum_offset 12
		.amdhsa_reserve_vcc 1
		.amdhsa_reserve_flat_scratch 0
		.amdhsa_float_round_mode_32 0
		.amdhsa_float_round_mode_16_64 0
		.amdhsa_float_denorm_mode_32 3
		.amdhsa_float_denorm_mode_16_64 3
		.amdhsa_dx10_clamp 1
		.amdhsa_ieee_mode 1
		.amdhsa_fp16_overflow 0
		.amdhsa_tg_split 0
		.amdhsa_exception_fp_ieee_invalid_op 0
		.amdhsa_exception_fp_denorm_src 0
		.amdhsa_exception_fp_ieee_div_zero 0
		.amdhsa_exception_fp_ieee_overflow 0
		.amdhsa_exception_fp_ieee_underflow 0
		.amdhsa_exception_fp_ieee_inexact 0
		.amdhsa_exception_int_div_zero 0
	.end_amdhsa_kernel
	.section	.text._ZN4vllm15rms_norm_kernelIN3c104HalfELi1ELi4EEEvPT_PKS3_lllllS6_fii,"axG",@progbits,_ZN4vllm15rms_norm_kernelIN3c104HalfELi1ELi4EEEvPT_PKS3_lllllS6_fii,comdat
.Lfunc_end39:
	.size	_ZN4vllm15rms_norm_kernelIN3c104HalfELi1ELi4EEEvPT_PKS3_lllllS6_fii, .Lfunc_end39-_ZN4vllm15rms_norm_kernelIN3c104HalfELi1ELi4EEEvPT_PKS3_lllllS6_fii
                                        ; -- End function
	.section	.AMDGPU.csdata,"",@progbits
; Kernel info:
; codeLenInByte = 2868
; NumSgprs: 39
; NumVgprs: 10
; NumAgprs: 0
; TotalNumVgprs: 10
; ScratchSize: 0
; MemoryBound: 0
; FloatMode: 240
; IeeeMode: 1
; LDSByteSize: 68 bytes/workgroup (compile time only)
; SGPRBlocks: 4
; VGPRBlocks: 1
; NumSGPRsForWavesPerEU: 39
; NumVGPRsForWavesPerEU: 10
; AccumOffset: 12
; Occupancy: 8
; WaveLimiterHint : 0
; COMPUTE_PGM_RSRC2:SCRATCH_EN: 0
; COMPUTE_PGM_RSRC2:USER_SGPR: 6
; COMPUTE_PGM_RSRC2:TRAP_HANDLER: 0
; COMPUTE_PGM_RSRC2:TGID_X_EN: 1
; COMPUTE_PGM_RSRC2:TGID_Y_EN: 0
; COMPUTE_PGM_RSRC2:TGID_Z_EN: 0
; COMPUTE_PGM_RSRC2:TIDIG_COMP_CNT: 0
; COMPUTE_PGM_RSRC3_GFX90A:ACCUM_OFFSET: 2
; COMPUTE_PGM_RSRC3_GFX90A:TG_SPLIT: 0
	.section	.text._ZN4vllm15rms_norm_kernelIN3c108BFloat16ELi16ELi4EEEvPT_PKS3_lllllS6_fii,"axG",@progbits,_ZN4vllm15rms_norm_kernelIN3c108BFloat16ELi16ELi4EEEvPT_PKS3_lllllS6_fii,comdat
	.protected	_ZN4vllm15rms_norm_kernelIN3c108BFloat16ELi16ELi4EEEvPT_PKS3_lllllS6_fii ; -- Begin function _ZN4vllm15rms_norm_kernelIN3c108BFloat16ELi16ELi4EEEvPT_PKS3_lllllS6_fii
	.globl	_ZN4vllm15rms_norm_kernelIN3c108BFloat16ELi16ELi4EEEvPT_PKS3_lllllS6_fii
	.p2align	8
	.type	_ZN4vllm15rms_norm_kernelIN3c108BFloat16ELi16ELi4EEEvPT_PKS3_lllllS6_fii,@function
_ZN4vllm15rms_norm_kernelIN3c108BFloat16ELi16ELi4EEEvPT_PKS3_lllllS6_fii: ; @_ZN4vllm15rms_norm_kernelIN3c108BFloat16ELi16ELi4EEEvPT_PKS3_lllllS6_fii
; %bb.0:
	s_load_dwordx8 s[8:15], s[4:5], 0x10
	s_load_dwordx2 s[2:3], s[4:5], 0x30
	s_mov_b32 s0, 0
	s_waitcnt lgkmcnt(0)
	s_mul_i32 s1, s2, s15
	s_mul_hi_u32 s7, s2, s14
	s_add_i32 s1, s7, s1
	s_mul_i32 s3, s3, s14
	s_add_i32 s1, s1, s3
	s_cmp_lg_u64 s[0:1], 0
	s_mul_i32 s7, s2, s14
	s_cbranch_scc0 .LBB40_41
; %bb.1:
	s_ashr_i32 s2, s1, 31
	s_add_u32 s0, s7, s2
	s_mov_b32 s3, s2
	s_addc_u32 s1, s1, s2
	s_xor_b64 s[16:17], s[0:1], s[2:3]
	v_cvt_f32_u32_e32 v1, s16
	v_cvt_f32_u32_e32 v2, s17
	s_sub_u32 s0, 0, s16
	s_subb_u32 s1, 0, s17
	v_madmk_f32 v1, v2, 0x4f800000, v1
	v_rcp_f32_e32 v1, v1
	v_mul_f32_e32 v1, 0x5f7ffffc, v1
	v_mul_f32_e32 v2, 0x2f800000, v1
	v_trunc_f32_e32 v2, v2
	v_madmk_f32 v1, v2, 0xcf800000, v1
	v_cvt_u32_f32_e32 v2, v2
	v_cvt_u32_f32_e32 v1, v1
	v_readfirstlane_b32 s20, v2
	v_readfirstlane_b32 s21, v1
	s_mul_i32 s22, s0, s20
	s_mul_hi_u32 s24, s0, s21
	s_mul_i32 s23, s1, s21
	s_add_i32 s22, s24, s22
	s_add_i32 s22, s22, s23
	s_mul_i32 s25, s0, s21
	s_mul_hi_u32 s23, s21, s22
	s_mul_i32 s24, s21, s22
	s_mul_hi_u32 s21, s21, s25
	s_add_u32 s21, s21, s24
	s_addc_u32 s23, 0, s23
	s_mul_hi_u32 s26, s20, s25
	s_mul_i32 s25, s20, s25
	s_add_u32 s21, s21, s25
	s_mul_hi_u32 s24, s20, s22
	s_addc_u32 s21, s23, s26
	s_addc_u32 s23, s24, 0
	s_mul_i32 s22, s20, s22
	s_add_u32 s21, s21, s22
	s_addc_u32 s22, 0, s23
	v_add_co_u32_e32 v1, vcc, s21, v1
	s_cmp_lg_u64 vcc, 0
	s_addc_u32 s20, s20, s22
	v_readfirstlane_b32 s22, v1
	s_mul_i32 s21, s0, s20
	s_mul_hi_u32 s23, s0, s22
	s_add_i32 s21, s23, s21
	s_mul_i32 s1, s1, s22
	s_add_i32 s21, s21, s1
	s_mul_i32 s0, s0, s22
	s_mul_hi_u32 s23, s20, s0
	s_mul_i32 s24, s20, s0
	s_mul_i32 s26, s22, s21
	s_mul_hi_u32 s0, s22, s0
	s_mul_hi_u32 s25, s22, s21
	s_add_u32 s0, s0, s26
	s_addc_u32 s22, 0, s25
	s_add_u32 s0, s0, s24
	s_mul_hi_u32 s1, s20, s21
	s_addc_u32 s0, s22, s23
	s_addc_u32 s1, s1, 0
	s_mul_i32 s21, s20, s21
	s_add_u32 s0, s0, s21
	s_addc_u32 s1, 0, s1
	v_add_co_u32_e32 v1, vcc, s0, v1
	s_cmp_lg_u64 vcc, 0
	s_addc_u32 s0, s20, s1
	v_readfirstlane_b32 s20, v1
	s_mul_hi_u32 s1, s6, s0
	s_mul_i32 s0, s6, s0
	s_mul_hi_u32 s20, s6, s20
	s_add_u32 s0, s20, s0
	s_addc_u32 s1, 0, s1
	s_add_u32 s0, s0, 0
	s_addc_u32 s0, s1, 0
	s_addc_u32 s1, 0, 0
	s_add_u32 s20, s0, 0
	s_addc_u32 s21, 0, s1
	s_mul_i32 s0, s16, s21
	s_mul_hi_u32 s1, s16, s20
	s_add_i32 s0, s1, s0
	s_mul_i32 s1, s17, s20
	s_add_i32 s22, s0, s1
	s_mul_i32 s1, s16, s20
	v_mov_b32_e32 v1, s1
	s_sub_i32 s0, 0, s22
	v_sub_co_u32_e32 v1, vcc, s6, v1
	s_cmp_lg_u64 vcc, 0
	s_subb_u32 s23, s0, s17
	v_subrev_co_u32_e64 v2, s[0:1], s16, v1
	s_cmp_lg_u64 s[0:1], 0
	s_subb_u32 s0, s23, 0
	s_cmp_ge_u32 s0, s17
	v_readfirstlane_b32 s23, v2
	s_cselect_b32 s1, -1, 0
	s_cmp_ge_u32 s23, s16
	s_cselect_b32 s23, -1, 0
	s_cmp_eq_u32 s0, s17
	s_cselect_b32 s0, s23, s1
	s_add_u32 s1, s20, 1
	s_addc_u32 s23, s21, 0
	s_add_u32 s24, s20, 2
	s_addc_u32 s25, s21, 0
	s_cmp_lg_u32 s0, 0
	s_cselect_b32 s0, s24, s1
	s_cselect_b32 s1, s25, s23
	s_cmp_lg_u64 vcc, 0
	s_subb_u32 s22, 0, s22
	s_cmp_ge_u32 s22, s17
	v_readfirstlane_b32 s24, v1
	s_cselect_b32 s23, -1, 0
	s_cmp_ge_u32 s24, s16
	s_cselect_b32 s16, -1, 0
	s_cmp_eq_u32 s22, s17
	s_cselect_b32 s16, s16, s23
	s_cmp_lg_u32 s16, 0
	s_cselect_b32 s1, s1, s21
	s_cselect_b32 s0, s0, s20
	s_xor_b64 s[0:1], s[0:1], s[2:3]
	s_sub_u32 s16, s0, s2
	s_subb_u32 s17, s1, s2
	s_cbranch_execnz .LBB40_3
.LBB40_2:
	v_cvt_f32_u32_e32 v1, s7
	s_sub_i32 s0, 0, s7
	s_mov_b32 s17, 0
	v_rcp_iflag_f32_e32 v1, v1
	v_mul_f32_e32 v1, 0x4f7ffffe, v1
	v_cvt_u32_f32_e32 v1, v1
	v_readfirstlane_b32 s1, v1
	s_mul_i32 s0, s0, s1
	s_mul_hi_u32 s0, s1, s0
	s_add_i32 s1, s1, s0
	s_mul_hi_u32 s0, s6, s1
	s_mul_i32 s2, s0, s7
	s_sub_i32 s2, s6, s2
	s_add_i32 s1, s0, 1
	s_sub_i32 s3, s2, s7
	s_cmp_ge_u32 s2, s7
	s_cselect_b32 s0, s1, s0
	s_cselect_b32 s2, s3, s2
	s_add_i32 s1, s0, 1
	s_cmp_ge_u32 s2, s7
	s_cselect_b32 s16, s1, s0
.LBB40_3:
	s_mul_i32 s0, s16, s7
	s_load_dwordx2 s[2:3], s[4:5], 0x8
	s_sub_i32 s18, s6, s0
	s_ashr_i32 s19, s18, 31
	s_or_b64 s[0:1], s[18:19], s[14:15]
	s_mov_b32 s0, 0
	s_cmp_lg_u64 s[0:1], 0
	s_cbranch_scc0 .LBB40_42
; %bb.4:
	s_ashr_i32 s20, s15, 31
	s_add_u32 s0, s14, s20
	s_mov_b32 s21, s20
	s_addc_u32 s1, s15, s20
	s_xor_b64 s[24:25], s[0:1], s[20:21]
	v_cvt_f32_u32_e32 v1, s24
	v_cvt_f32_u32_e32 v2, s25
	s_sub_u32 s0, 0, s24
	s_subb_u32 s1, 0, s25
	v_madmk_f32 v1, v2, 0x4f800000, v1
	v_rcp_f32_e32 v1, v1
	v_mul_f32_e32 v1, 0x5f7ffffc, v1
	v_mul_f32_e32 v2, 0x2f800000, v1
	v_trunc_f32_e32 v2, v2
	v_madmk_f32 v1, v2, 0xcf800000, v1
	v_cvt_u32_f32_e32 v2, v2
	v_cvt_u32_f32_e32 v1, v1
	v_readfirstlane_b32 s7, v2
	v_readfirstlane_b32 s26, v1
	s_mul_i32 s27, s0, s7
	s_mul_hi_u32 s29, s0, s26
	s_mul_i32 s28, s1, s26
	s_add_i32 s27, s29, s27
	s_add_i32 s27, s27, s28
	s_mul_i32 s30, s0, s26
	s_mul_hi_u32 s28, s26, s27
	s_mul_i32 s29, s26, s27
	s_mul_hi_u32 s26, s26, s30
	s_add_u32 s26, s26, s29
	s_addc_u32 s28, 0, s28
	s_mul_hi_u32 s31, s7, s30
	s_mul_i32 s30, s7, s30
	s_add_u32 s26, s26, s30
	s_mul_hi_u32 s29, s7, s27
	s_addc_u32 s26, s28, s31
	s_addc_u32 s28, s29, 0
	s_mul_i32 s27, s7, s27
	s_add_u32 s26, s26, s27
	s_addc_u32 s27, 0, s28
	v_add_co_u32_e32 v1, vcc, s26, v1
	s_cmp_lg_u64 vcc, 0
	s_addc_u32 s7, s7, s27
	v_readfirstlane_b32 s27, v1
	s_mul_i32 s26, s0, s7
	s_mul_hi_u32 s28, s0, s27
	s_add_i32 s26, s28, s26
	s_mul_i32 s1, s1, s27
	s_add_i32 s26, s26, s1
	s_mul_i32 s0, s0, s27
	s_mul_hi_u32 s28, s7, s0
	s_mul_i32 s29, s7, s0
	s_mul_i32 s31, s27, s26
	s_mul_hi_u32 s0, s27, s0
	s_mul_hi_u32 s30, s27, s26
	s_add_u32 s0, s0, s31
	s_addc_u32 s27, 0, s30
	s_add_u32 s0, s0, s29
	s_mul_hi_u32 s1, s7, s26
	s_addc_u32 s0, s27, s28
	s_addc_u32 s1, s1, 0
	s_mul_i32 s26, s7, s26
	s_add_u32 s0, s0, s26
	s_addc_u32 s1, 0, s1
	v_add_co_u32_e32 v1, vcc, s0, v1
	s_cmp_lg_u64 vcc, 0
	s_addc_u32 s7, s7, s1
	s_add_u32 s0, s18, s19
	s_mov_b32 s26, s19
	s_mov_b32 s27, s19
	s_addc_u32 s1, s19, s19
	s_xor_b64 s[28:29], s[0:1], s[26:27]
	v_readfirstlane_b32 s30, v1
	s_mul_i32 s1, s28, s7
	s_mul_hi_u32 s31, s28, s30
	s_mul_hi_u32 s0, s28, s7
	s_add_u32 s1, s31, s1
	s_addc_u32 s0, 0, s0
	s_mul_hi_u32 s33, s29, s30
	s_mul_i32 s30, s29, s30
	s_add_u32 s1, s1, s30
	s_mul_hi_u32 s31, s29, s7
	s_addc_u32 s0, s0, s33
	s_addc_u32 s1, s31, 0
	s_mul_i32 s7, s29, s7
	s_add_u32 s7, s0, s7
	s_addc_u32 s30, 0, s1
	s_mul_i32 s0, s24, s30
	s_mul_hi_u32 s1, s24, s7
	s_add_i32 s0, s1, s0
	s_mul_i32 s1, s25, s7
	s_add_i32 s31, s0, s1
	s_mul_i32 s1, s24, s7
	v_mov_b32_e32 v1, s1
	s_sub_i32 s0, s29, s31
	v_sub_co_u32_e32 v1, vcc, s28, v1
	s_cmp_lg_u64 vcc, 0
	s_subb_u32 s28, s0, s25
	v_subrev_co_u32_e64 v2, s[0:1], s24, v1
	s_cmp_lg_u64 s[0:1], 0
	s_subb_u32 s0, s28, 0
	s_cmp_ge_u32 s0, s25
	v_readfirstlane_b32 s28, v2
	s_cselect_b32 s1, -1, 0
	s_cmp_ge_u32 s28, s24
	s_cselect_b32 s28, -1, 0
	s_cmp_eq_u32 s0, s25
	s_cselect_b32 s0, s28, s1
	s_add_u32 s1, s7, 1
	s_addc_u32 s28, s30, 0
	s_add_u32 s33, s7, 2
	s_addc_u32 s34, s30, 0
	s_cmp_lg_u32 s0, 0
	s_cselect_b32 s0, s33, s1
	s_cselect_b32 s1, s34, s28
	s_cmp_lg_u64 vcc, 0
	s_subb_u32 s28, s29, s31
	s_cmp_ge_u32 s28, s25
	v_readfirstlane_b32 s31, v1
	s_cselect_b32 s29, -1, 0
	s_cmp_ge_u32 s31, s24
	s_cselect_b32 s24, -1, 0
	s_cmp_eq_u32 s28, s25
	s_cselect_b32 s24, s24, s29
	s_cmp_lg_u32 s24, 0
	s_cselect_b32 s1, s1, s30
	s_cselect_b32 s0, s0, s7
	s_xor_b64 s[20:21], s[26:27], s[20:21]
	s_xor_b64 s[0:1], s[0:1], s[20:21]
	s_sub_u32 s20, s0, s20
	s_subb_u32 s21, s1, s21
	s_cbranch_execnz .LBB40_6
.LBB40_5:
	v_cvt_f32_u32_e32 v1, s14
	s_sub_i32 s0, 0, s14
	s_mov_b32 s21, 0
	v_rcp_iflag_f32_e32 v1, v1
	v_mul_f32_e32 v1, 0x4f7ffffe, v1
	v_cvt_u32_f32_e32 v1, v1
	v_readfirstlane_b32 s1, v1
	s_mul_i32 s0, s0, s1
	s_mul_hi_u32 s0, s1, s0
	s_add_i32 s1, s1, s0
	s_mul_hi_u32 s0, s18, s1
	s_mul_i32 s7, s0, s14
	s_sub_i32 s7, s18, s7
	s_add_i32 s1, s0, 1
	s_sub_i32 s20, s7, s14
	s_cmp_ge_u32 s7, s14
	s_cselect_b32 s0, s1, s0
	s_cselect_b32 s7, s20, s7
	s_add_i32 s1, s0, 1
	s_cmp_ge_u32 s7, s14
	s_cselect_b32 s20, s1, s0
.LBB40_6:
	s_mul_i32 s0, s20, s15
	s_mul_hi_u32 s1, s20, s14
	s_add_i32 s0, s1, s0
	s_mul_i32 s1, s21, s14
	s_add_i32 s0, s0, s1
	s_mul_i32 s1, s20, s14
	s_sub_u32 s14, s18, s1
	s_subb_u32 s7, s19, s0
	s_bfe_i64 s[0:1], s[16:17], 0x200000
	s_mul_i32 s0, s16, s13
	s_mul_hi_u32 s13, s16, s12
	s_add_i32 s0, s13, s0
	s_mul_i32 s1, s1, s12
	s_add_i32 s1, s0, s1
	s_mul_i32 s0, s16, s12
	s_lshl_b64 s[0:1], s[0:1], 1
	s_waitcnt lgkmcnt(0)
	s_add_u32 s15, s2, s0
	s_addc_u32 s16, s3, s1
	s_bfe_i64 s[12:13], s[20:21], 0x200000
	s_mul_i32 s11, s20, s11
	s_mul_hi_u32 s12, s20, s10
	s_add_i32 s11, s12, s11
	s_mul_i32 s12, s13, s10
	s_add_i32 s11, s11, s12
	s_mul_i32 s10, s20, s10
	s_lshl_b64 s[10:11], s[10:11], 1
	s_add_u32 s12, s15, s10
	s_mul_i32 s9, s14, s9
	s_mul_hi_u32 s15, s14, s8
	s_addc_u32 s13, s16, s11
	s_add_i32 s9, s15, s9
	s_mul_i32 s7, s7, s8
	s_add_i32 s9, s9, s7
	s_load_dword s7, s[4:5], 0x48
	s_load_dword s15, s[4:5], 0x5c
	s_mul_i32 s8, s14, s8
	s_lshl_b64 s[8:9], s[8:9], 1
	s_add_u32 s33, s12, s8
	s_addc_u32 s36, s13, s9
	s_waitcnt lgkmcnt(0)
	s_and_b32 s37, s15, 0xffff
	s_and_b32 s12, s33, 31
	s_mov_b32 s13, 0
	s_cmp_lg_u64 s[12:13], 0
	s_cselect_b64 s[12:13], -1, 0
	s_and_b32 s14, s7, 15
	s_cmp_lg_u32 s14, 0
	s_cselect_b64 s[14:15], -1, 0
	s_or_b64 s[12:13], s[14:15], s[12:13]
	s_and_b64 vcc, exec, s[12:13]
	s_cbranch_vccz .LBB40_20
; %bb.7:
	s_sub_i32 s12, 0, s33
	s_bfe_u32 s12, s12, 0x40001
	s_min_i32 s12, s12, s7
	v_cmp_gt_i32_e32 vcc, s12, v0
	v_mov_b32_e32 v1, 0
	s_and_saveexec_b64 s[14:15], vcc
	s_cbranch_execz .LBB40_11
; %bb.8:
	s_add_u32 s13, s8, s0
	s_addc_u32 s16, s9, s1
	s_add_u32 s13, s13, s10
	s_addc_u32 s16, s16, s11
	s_add_u32 s13, s2, s13
	v_lshlrev_b32_e32 v1, 1, v0
	s_addc_u32 s16, s3, s16
	s_mov_b32 s18, 0
	v_mov_b32_e32 v3, s16
	v_add_co_u32_e32 v2, vcc, s13, v1
	v_addc_co_u32_e32 v3, vcc, 0, v3, vcc
	s_lshl_b32 s13, s37, 1
	s_mov_b64 s[16:17], 0
	v_mov_b32_e32 v1, 0
	v_mov_b32_e32 v4, s18
	;; [unrolled: 1-line block ×3, first 2 shown]
.LBB40_9:                               ; =>This Inner Loop Header: Depth=1
	global_load_ushort v6, v[2:3], off
	v_add_co_u32_e32 v2, vcc, s13, v2
	v_add_u32_e32 v5, s37, v5
	v_addc_co_u32_e32 v3, vcc, v3, v4, vcc
	v_cmp_le_i32_e32 vcc, s12, v5
	s_or_b64 s[16:17], vcc, s[16:17]
	s_waitcnt vmcnt(0)
	v_lshlrev_b32_e32 v6, 16, v6
	v_fmac_f32_e32 v1, v6, v6
	s_andn2_b64 exec, exec, s[16:17]
	s_cbranch_execnz .LBB40_9
; %bb.10:
	s_or_b64 exec, exec, s[16:17]
.LBB40_11:
	s_or_b64 exec, exec, s[14:15]
	s_sub_i32 s18, s7, s12
	s_ashr_i32 s14, s18, 31
	s_lshr_b32 s14, s14, 28
	s_add_i32 s14, s18, s14
	s_ashr_i32 s19, s14, 4
	s_ashr_i32 s13, s12, 31
	v_cmp_gt_i32_e32 vcc, s19, v0
	s_and_saveexec_b64 s[14:15], vcc
	s_cbranch_execz .LBB40_15
; %bb.12:
	s_add_u32 s16, s8, s0
	s_addc_u32 s17, s9, s1
	s_add_u32 s20, s16, s10
	s_addc_u32 s21, s17, s11
	s_lshl_b64 s[16:17], s[12:13], 1
	s_add_u32 s16, s2, s16
	s_addc_u32 s17, s3, s17
	s_add_u32 s16, s16, s20
	v_lshlrev_b32_e32 v2, 5, v0
	s_addc_u32 s17, s17, s21
	s_mov_b32 s22, 0
	v_mov_b32_e32 v3, s17
	v_add_co_u32_e32 v2, vcc, s16, v2
	v_addc_co_u32_e32 v3, vcc, 0, v3, vcc
	s_lshl_b32 s20, s37, 5
	s_mov_b64 s[16:17], 0
	v_mov_b32_e32 v4, s22
	v_mov_b32_e32 v5, v0
.LBB40_13:                              ; =>This Inner Loop Header: Depth=1
	global_load_dwordx4 v[6:9], v[2:3], off
	global_load_dwordx4 v[10:13], v[2:3], off offset:16
	v_add_co_u32_e32 v2, vcc, s20, v2
	v_add_u32_e32 v5, s37, v5
	v_addc_co_u32_e32 v3, vcc, v3, v4, vcc
	v_cmp_le_i32_e32 vcc, s19, v5
	s_or_b64 s[16:17], vcc, s[16:17]
	s_waitcnt vmcnt(1)
	v_lshlrev_b32_e32 v20, 16, v6
	v_and_b32_e32 v21, 0xffff0000, v6
	v_fmac_f32_e32 v1, v20, v20
	v_lshlrev_b32_e32 v22, 16, v7
	v_fmac_f32_e32 v1, v21, v21
	v_and_b32_e32 v23, 0xffff0000, v7
	v_and_b32_e32 v7, 0xffff0000, v8
	v_lshlrev_b32_e32 v6, 16, v8
	v_fmac_f32_e32 v1, v22, v22
	v_pk_mul_f32 v[6:7], v[6:7], v[6:7]
	v_fmac_f32_e32 v1, v23, v23
	v_and_b32_e32 v15, 0xffff0000, v9
	v_lshlrev_b32_e32 v14, 16, v9
	v_add_f32_e32 v1, v1, v6
	s_waitcnt vmcnt(0)
	v_and_b32_e32 v9, 0xffff0000, v10
	v_lshlrev_b32_e32 v8, 16, v10
	v_and_b32_e32 v17, 0xffff0000, v11
	v_lshlrev_b32_e32 v16, 16, v11
	;; [unrolled: 2-line block ×4, first 2 shown]
	v_pk_mul_f32 v[12:13], v[14:15], v[14:15]
	v_add_f32_e32 v1, v1, v7
	v_add_f32_e32 v1, v1, v12
	v_pk_mul_f32 v[8:9], v[8:9], v[8:9]
	v_add_f32_e32 v1, v1, v13
	v_add_f32_e32 v1, v1, v8
	;; [unrolled: 3-line block ×5, first 2 shown]
	v_add_f32_e32 v1, v1, v17
	s_andn2_b64 exec, exec, s[16:17]
	s_cbranch_execnz .LBB40_13
; %bb.14:
	s_or_b64 exec, exec, s[16:17]
.LBB40_15:
	s_or_b64 exec, exec, s[14:15]
	v_lshl_add_u32 v2, s19, 4, v0
	v_cmp_gt_i32_e32 vcc, s18, v2
	s_and_saveexec_b64 s[14:15], vcc
	s_cbranch_execz .LBB40_19
; %bb.16:
	s_add_u32 s16, s8, s0
	s_addc_u32 s17, s9, s1
	s_add_u32 s16, s16, s10
	s_addc_u32 s17, s17, s11
	s_lshl_b64 s[12:13], s[12:13], 1
	s_add_u32 s12, s16, s12
	s_addc_u32 s13, s17, s13
	v_ashrrev_i32_e32 v3, 31, v2
	s_add_u32 s12, s2, s12
	v_lshlrev_b64 v[4:5], 1, v[2:3]
	s_addc_u32 s13, s3, s13
	v_mov_b32_e32 v3, s13
	v_add_co_u32_e32 v4, vcc, s12, v4
	s_mov_b32 s17, 0
	v_addc_co_u32_e32 v5, vcc, v3, v5, vcc
	s_lshl_b32 s16, s37, 1
	s_mov_b64 s[12:13], 0
	v_mov_b32_e32 v3, s17
.LBB40_17:                              ; =>This Inner Loop Header: Depth=1
	global_load_ushort v6, v[4:5], off
	v_add_co_u32_e32 v4, vcc, s16, v4
	v_add_u32_e32 v2, s37, v2
	v_addc_co_u32_e32 v5, vcc, v5, v3, vcc
	v_cmp_le_i32_e32 vcc, s18, v2
	s_or_b64 s[12:13], vcc, s[12:13]
	s_waitcnt vmcnt(0)
	v_lshlrev_b32_e32 v6, 16, v6
	v_fmac_f32_e32 v1, v6, v6
	s_andn2_b64 exec, exec, s[12:13]
	s_cbranch_execnz .LBB40_17
; %bb.18:
	s_or_b64 exec, exec, s[12:13]
.LBB40_19:
	s_or_b64 exec, exec, s[14:15]
	s_branch .LBB40_26
.LBB40_20:
                                        ; implicit-def: $vgpr1
	s_cbranch_execz .LBB40_26
; %bb.21:
	s_ashr_i32 s14, s7, 4
	v_cmp_gt_i32_e32 vcc, s14, v0
	v_mov_b32_e32 v1, 0
	s_and_saveexec_b64 s[12:13], vcc
	s_cbranch_execz .LBB40_25
; %bb.22:
	s_add_u32 s0, s8, s0
	s_addc_u32 s1, s9, s1
	s_add_u32 s0, s0, s10
	s_addc_u32 s1, s1, s11
	s_add_u32 s0, s2, s0
	v_lshlrev_b32_e32 v1, 5, v0
	s_addc_u32 s1, s3, s1
	s_mov_b32 s8, 0
	v_mov_b32_e32 v3, s1
	v_add_co_u32_e32 v2, vcc, s0, v1
	v_addc_co_u32_e32 v3, vcc, 0, v3, vcc
	s_lshl_b32 s2, s37, 5
	s_mov_b64 s[0:1], 0
	v_mov_b32_e32 v1, 0
	v_mov_b32_e32 v4, s8
	;; [unrolled: 1-line block ×3, first 2 shown]
.LBB40_23:                              ; =>This Inner Loop Header: Depth=1
	global_load_dwordx4 v[6:9], v[2:3], off
	global_load_dwordx4 v[10:13], v[2:3], off offset:16
	v_add_co_u32_e32 v2, vcc, s2, v2
	v_add_u32_e32 v5, s37, v5
	v_addc_co_u32_e32 v3, vcc, v3, v4, vcc
	v_cmp_le_i32_e32 vcc, s14, v5
	s_or_b64 s[0:1], vcc, s[0:1]
	s_waitcnt vmcnt(1)
	v_lshlrev_b32_e32 v20, 16, v6
	v_and_b32_e32 v21, 0xffff0000, v6
	v_fmac_f32_e32 v1, v20, v20
	v_lshlrev_b32_e32 v22, 16, v7
	v_fmac_f32_e32 v1, v21, v21
	v_and_b32_e32 v23, 0xffff0000, v7
	v_and_b32_e32 v7, 0xffff0000, v8
	v_lshlrev_b32_e32 v6, 16, v8
	v_fmac_f32_e32 v1, v22, v22
	v_pk_mul_f32 v[6:7], v[6:7], v[6:7]
	v_fmac_f32_e32 v1, v23, v23
	v_and_b32_e32 v15, 0xffff0000, v9
	v_lshlrev_b32_e32 v14, 16, v9
	v_add_f32_e32 v1, v6, v1
	s_waitcnt vmcnt(0)
	v_and_b32_e32 v9, 0xffff0000, v10
	v_lshlrev_b32_e32 v8, 16, v10
	v_and_b32_e32 v17, 0xffff0000, v11
	v_lshlrev_b32_e32 v16, 16, v11
	;; [unrolled: 2-line block ×4, first 2 shown]
	v_pk_mul_f32 v[12:13], v[14:15], v[14:15]
	v_add_f32_e32 v1, v7, v1
	v_add_f32_e32 v1, v12, v1
	v_pk_mul_f32 v[8:9], v[8:9], v[8:9]
	v_add_f32_e32 v1, v13, v1
	v_add_f32_e32 v1, v8, v1
	;; [unrolled: 3-line block ×5, first 2 shown]
	v_add_f32_e32 v1, v17, v1
	s_andn2_b64 exec, exec, s[0:1]
	s_cbranch_execnz .LBB40_23
; %bb.24:
	s_or_b64 exec, exec, s[0:1]
.LBB40_25:
	s_or_b64 exec, exec, s[12:13]
.LBB40_26:
	v_mbcnt_lo_u32_b32 v2, -1, 0
	v_mbcnt_hi_u32_b32 v2, -1, v2
	v_and_b32_e32 v3, 63, v2
	v_cmp_ne_u32_e32 vcc, 63, v3
	v_addc_co_u32_e32 v4, vcc, 0, v2, vcc
	v_lshlrev_b32_e32 v4, 2, v4
	ds_bpermute_b32 v4, v4, v1
	v_and_b32_e32 v5, 0x3c0, v0
	v_sub_u32_e64 v5, s37, v5 clamp
	v_add_u32_e32 v6, 1, v2
	v_cmp_lt_u32_e32 vcc, v6, v5
	s_waitcnt lgkmcnt(0)
	v_add_f32_e32 v4, v1, v4
	v_cndmask_b32_e32 v1, v1, v4, vcc
	v_cmp_gt_u32_e32 vcc, 62, v3
	v_cndmask_b32_e64 v4, 0, 1, vcc
	v_lshlrev_b32_e32 v4, 1, v4
	v_add_lshl_u32 v4, v4, v2, 2
	ds_bpermute_b32 v4, v4, v1
	v_add_u32_e32 v6, 2, v2
	v_cmp_lt_u32_e32 vcc, v6, v5
	v_add_u32_e32 v6, 4, v2
	s_waitcnt lgkmcnt(0)
	v_add_f32_e32 v4, v1, v4
	v_cndmask_b32_e32 v1, v1, v4, vcc
	v_cmp_gt_u32_e32 vcc, 60, v3
	v_cndmask_b32_e64 v4, 0, 1, vcc
	v_lshlrev_b32_e32 v4, 2, v4
	v_add_lshl_u32 v4, v4, v2, 2
	ds_bpermute_b32 v4, v4, v1
	v_cmp_lt_u32_e32 vcc, v6, v5
	v_add_u32_e32 v6, 8, v2
	s_waitcnt lgkmcnt(0)
	v_add_f32_e32 v4, v1, v4
	v_cndmask_b32_e32 v1, v1, v4, vcc
	v_cmp_gt_u32_e32 vcc, 56, v3
	v_cndmask_b32_e64 v4, 0, 1, vcc
	v_lshlrev_b32_e32 v4, 3, v4
	v_add_lshl_u32 v4, v4, v2, 2
	ds_bpermute_b32 v4, v4, v1
	;; [unrolled: 10-line block ×3, first 2 shown]
	v_cmp_lt_u32_e32 vcc, v6, v5
	s_waitcnt lgkmcnt(0)
	v_add_f32_e32 v4, v1, v4
	v_cndmask_b32_e32 v1, v1, v4, vcc
	v_cmp_gt_u32_e32 vcc, 32, v3
	v_cndmask_b32_e64 v3, 0, 1, vcc
	v_lshlrev_b32_e32 v3, 5, v3
	v_add_lshl_u32 v3, v3, v2, 2
	ds_bpermute_b32 v3, v3, v1
	v_add_u32_e32 v4, 32, v2
	v_cmp_lt_u32_e32 vcc, v4, v5
	s_waitcnt lgkmcnt(0)
	v_add_f32_e32 v3, v1, v3
	v_cndmask_b32_e32 v1, v1, v3, vcc
	v_cmp_eq_u32_e32 vcc, 0, v2
	s_and_saveexec_b64 s[0:1], vcc
	s_cbranch_execz .LBB40_28
; %bb.27:
	v_lshrrev_b32_e32 v3, 4, v0
	v_and_b32_e32 v3, 60, v3
	ds_write_b32 v3, v1
.LBB40_28:
	s_or_b64 exec, exec, s[0:1]
	v_cmp_gt_u32_e32 vcc, 16, v0
	s_waitcnt lgkmcnt(0)
	s_barrier
	s_and_saveexec_b64 s[2:3], vcc
	s_cbranch_execz .LBB40_30
; %bb.29:
	v_lshlrev_b32_e32 v1, 2, v2
	ds_read_b32 v1, v1
	v_and_b32_e32 v3, 15, v2
	v_cmp_ne_u32_e32 vcc, 15, v3
	v_addc_co_u32_e32 v4, vcc, 0, v2, vcc
	v_lshlrev_b32_e32 v4, 2, v4
	s_waitcnt lgkmcnt(0)
	ds_bpermute_b32 v4, v4, v1
	s_add_i32 s0, s37, 63
	s_lshr_b32 s8, s0, 6
	v_add_u32_e32 v5, 1, v3
	v_cmp_gt_u32_e64 s[0:1], 14, v3
	v_cmp_gt_u32_e32 vcc, s8, v5
	v_cndmask_b32_e64 v5, 0, 1, s[0:1]
	s_waitcnt lgkmcnt(0)
	v_add_f32_e32 v4, v1, v4
	v_lshlrev_b32_e32 v5, 1, v5
	v_cndmask_b32_e32 v4, v1, v4, vcc
	v_add_lshl_u32 v5, v5, v2, 2
	ds_bpermute_b32 v5, v5, v4
	v_add_u32_e32 v6, 2, v3
	v_cmp_gt_u32_e64 s[0:1], s8, v6
	v_add_u32_e32 v6, 4, v3
	s_waitcnt lgkmcnt(0)
	v_add_f32_e32 v5, v4, v5
	v_cndmask_b32_e64 v4, v4, v5, s[0:1]
	v_cmp_gt_u32_e64 s[0:1], 12, v3
	v_cndmask_b32_e64 v5, 0, 1, s[0:1]
	v_lshlrev_b32_e32 v5, 2, v5
	v_add_lshl_u32 v5, v5, v2, 2
	ds_bpermute_b32 v5, v5, v4
	v_cmp_gt_u32_e64 s[0:1], s8, v6
	s_waitcnt lgkmcnt(0)
	v_add_f32_e32 v5, v4, v5
	v_cndmask_b32_e64 v4, v4, v5, s[0:1]
	v_cmp_gt_u32_e64 s[0:1], 8, v3
	v_cndmask_b32_e64 v5, 0, 1, s[0:1]
	v_lshlrev_b32_e32 v5, 3, v5
	v_add_lshl_u32 v2, v5, v2, 2
	ds_bpermute_b32 v2, v2, v4
	v_add_u32_e32 v3, 8, v3
	v_cmp_gt_u32_e64 s[0:1], s8, v3
	s_waitcnt lgkmcnt(0)
	v_add_f32_e32 v2, v4, v2
	v_cndmask_b32_e64 v2, v4, v2, s[0:1]
	v_cndmask_b32_e32 v1, v1, v2, vcc
.LBB40_30:
	s_or_b64 exec, exec, s[2:3]
	v_cmp_eq_u32_e32 vcc, 0, v0
	s_and_saveexec_b64 s[0:1], vcc
	s_cbranch_execz .LBB40_32
; %bb.31:
	v_cvt_f32_i32_e32 v2, s7
	s_load_dword s8, s[4:5], 0x40
	v_div_scale_f32 v3, s[2:3], v2, v2, v1
	v_rcp_f32_e32 v4, v3
	v_div_scale_f32 v5, vcc, v1, v2, v1
	s_mov_b32 s2, 0x800000
	v_fma_f32 v6, -v3, v4, 1.0
	v_fmac_f32_e32 v4, v6, v4
	v_mul_f32_e32 v6, v5, v4
	v_fma_f32 v7, -v3, v6, v5
	v_fmac_f32_e32 v6, v7, v4
	v_fma_f32 v3, -v3, v6, v5
	v_div_fmas_f32 v3, v3, v4, v6
	v_div_fixup_f32 v1, v3, v2, v1
	s_waitcnt lgkmcnt(0)
	v_add_f32_e32 v1, s8, v1
	v_mul_f32_e32 v2, 0x4b800000, v1
	v_cmp_gt_f32_e32 vcc, s2, v1
	v_cndmask_b32_e32 v1, v1, v2, vcc
	v_rsq_f32_e32 v1, v1
	v_mul_f32_e32 v2, 0x45800000, v1
	v_cndmask_b32_e32 v1, v1, v2, vcc
	v_mov_b32_e32 v2, 0
	ds_write_b32 v2, v1 offset:64
.LBB40_32:
	s_or_b64 exec, exec, s[0:1]
	s_ashr_i32 s0, s7, 31
	s_lshr_b32 s0, s0, 28
	s_add_i32 s0, s7, s0
	s_ashr_i32 s38, s0, 4
	v_cmp_gt_i32_e32 vcc, s38, v0
	s_waitcnt lgkmcnt(0)
	s_barrier
	s_and_saveexec_b64 s[0:1], vcc
	s_cbranch_execz .LBB40_40
; %bb.33:
	v_cvt_f32_u32_e32 v1, s37
	s_load_dwordx2 s[0:1], s[4:5], 0x0
	s_load_dwordx2 s[30:31], s[4:5], 0x38
	s_mul_i32 s2, s6, s7
	s_mov_b32 s3, 0
	v_rcp_iflag_f32_e32 v1, v1
	s_lshl_b64 s[2:3], s[2:3], 1
	v_add_u32_e32 v2, s37, v0
	s_waitcnt lgkmcnt(0)
	s_add_u32 s39, s0, s2
	v_mul_f32_e32 v1, 0x4f7ffffe, v1
	v_cvt_u32_f32_e32 v1, v1
	v_mov_b32_e32 v4, s37
	v_cmp_gt_i32_e32 vcc, s38, v2
	s_addc_u32 s40, s1, s3
	v_max_i32_e32 v3, s38, v2
	v_addc_co_u32_e64 v2, s[0:1], v0, v4, vcc
	s_sub_i32 s0, 0, s37
	v_sub_u32_e32 v2, v3, v2
	v_mul_lo_u32 v3, s0, v1
	v_mul_hi_u32 v3, v1, v3
	v_add_u32_e32 v1, v1, v3
	v_mul_hi_u32 v1, v2, v1
	v_mul_lo_u32 v3, v1, s37
	v_sub_u32_e32 v2, v2, v3
	v_add_u32_e32 v3, 1, v1
	v_cmp_le_u32_e64 s[0:1], s37, v2
	v_cndmask_b32_e64 v1, v1, v3, s[0:1]
	v_subrev_u32_e32 v3, s37, v2
	v_mov_b32_e32 v37, 0
	v_cndmask_b32_e64 v2, v2, v3, s[0:1]
	ds_read_b32 v34, v37 offset:64
	v_add_u32_e32 v3, 1, v1
	v_cmp_le_u32_e64 s[0:1], s37, v2
	v_cndmask_b32_e64 v1, v1, v3, s[0:1]
	v_addc_co_u32_e32 v44, vcc, 1, v1, vcc
	s_cmp_eq_u32 s37, 1
	v_cmp_lt_u32_e32 vcc, 1, v44
	s_cselect_b64 s[0:1], -1, 0
	s_and_b64 s[4:5], vcc, s[0:1]
	s_mov_b64 s[2:3], -1
	s_and_saveexec_b64 s[0:1], s[4:5]
	s_cbranch_execz .LBB40_37
; %bb.34:
	v_and_b32_e32 v45, -2, v44
	v_add_u32_e32 v1, 1, v0
	s_waitcnt lgkmcnt(0)
	v_mov_b32_e32 v35, v34
	s_mov_b64 s[2:3], 0
	v_mov_b32_e32 v46, s36
	v_mov_b32_e32 v47, s31
	s_movk_i32 s4, 0x7fff
	v_mov_b32_e32 v48, 0x7fc00000
	v_mov_b32_e32 v49, 0x7fc0
	;; [unrolled: 1-line block ×3, first 2 shown]
	s_mov_b32 s5, 0x5040100
	v_mov_b32_e32 v51, v45
	v_pk_mov_b32 v[38:39], v[0:1], v[0:1] op_sel:[0,1]
.LBB40_35:                              ; =>This Inner Loop Header: Depth=1
	v_mov_b32_e32 v36, v38
	v_lshlrev_b64 v[40:41], 5, v[36:37]
	v_add_co_u32_e32 v2, vcc, s33, v40
	v_mov_b32_e32 v36, v39
	v_addc_co_u32_e32 v3, vcc, v46, v41, vcc
	v_lshlrev_b64 v[42:43], 5, v[36:37]
	v_add_co_u32_e32 v4, vcc, s33, v42
	v_addc_co_u32_e32 v5, vcc, v46, v43, vcc
	global_load_dwordx4 v[22:25], v[2:3], off
	global_load_dwordx4 v[30:33], v[4:5], off
	global_load_dwordx4 v[6:9], v[2:3], off offset:16
	global_load_dwordx4 v[14:17], v[4:5], off offset:16
	v_add_co_u32_e32 v52, vcc, s30, v40
	v_addc_co_u32_e32 v53, vcc, v47, v41, vcc
	v_add_co_u32_e32 v54, vcc, s30, v42
	v_addc_co_u32_e32 v55, vcc, v47, v43, vcc
	global_load_dwordx4 v[18:21], v[52:53], off
	global_load_dwordx4 v[26:29], v[54:55], off
	global_load_dwordx4 v[2:5], v[52:53], off offset:16
	global_load_dwordx4 v[10:13], v[54:55], off offset:16
	v_add_u32_e32 v51, -2, v51
	v_add_u32_e32 v39, 2, v39
	v_add_u32_e32 v38, 2, v38
	s_waitcnt vmcnt(7)
	v_lshlrev_b32_e32 v52, 16, v22
	s_waitcnt vmcnt(6)
	v_lshlrev_b32_e32 v53, 16, v30
	v_pk_mul_f32 v[52:53], v[34:35], v[52:53]
	v_bfe_u32 v36, v53, 16, 1
	v_bfe_u32 v1, v52, 16, 1
	v_add3_u32 v36, v53, v36, s4
	v_add3_u32 v1, v52, v1, s4
	v_and_b32_e32 v36, 0xffff0000, v36
	v_cmp_o_f32_e32 vcc, v53, v53
	v_and_b32_e32 v1, 0xffff0000, v1
	v_cndmask_b32_e32 v53, v48, v36, vcc
	v_cmp_o_f32_e32 vcc, v52, v52
	v_cndmask_b32_e32 v52, v48, v1, vcc
	s_waitcnt vmcnt(2)
	v_lshlrev_b32_e32 v55, 16, v26
	v_lshlrev_b32_e32 v54, 16, v18
	v_pk_mul_f32 v[52:53], v[52:53], v[54:55]
	v_bfe_u32 v1, v53, 16, 1
	v_add3_u32 v1, v53, v1, s4
	v_bfe_u32 v36, v52, 16, 1
	v_lshrrev_b32_e32 v1, 16, v1
	v_cmp_o_f32_e32 vcc, v53, v53
	v_add3_u32 v36, v52, v36, s4
	v_cndmask_b32_e32 v1, v49, v1, vcc
	v_cmp_o_f32_e32 vcc, v52, v52
	v_and_b32_e32 v53, 0xffff0000, v30
	v_and_b32_e32 v52, 0xffff0000, v22
	v_pk_mul_f32 v[52:53], v[34:35], v[52:53]
	v_bfe_u32 v30, v53, 16, 1
	v_lshrrev_b32_e32 v36, 16, v36
	v_bfe_u32 v22, v52, 16, 1
	v_add3_u32 v30, v53, v30, s4
	v_cndmask_b32_e32 v36, v49, v36, vcc
	v_add3_u32 v22, v52, v22, s4
	v_and_b32_e32 v30, 0xffff0000, v30
	v_cmp_o_f32_e32 vcc, v53, v53
	v_and_b32_e32 v22, 0xffff0000, v22
	v_cndmask_b32_e32 v53, v48, v30, vcc
	v_cmp_o_f32_e32 vcc, v52, v52
	v_cndmask_b32_e32 v52, v48, v22, vcc
	v_and_b32_e32 v55, 0xffff0000, v26
	v_and_b32_e32 v54, 0xffff0000, v18
	v_pk_mul_f32 v[52:53], v[52:53], v[54:55]
	v_bfe_u32 v18, v53, 16, 1
	v_add3_u32 v18, v53, v18, s4
	v_bfe_u32 v22, v52, 16, 1
	v_lshrrev_b32_e32 v18, 16, v18
	v_cmp_o_f32_e32 vcc, v53, v53
	v_add3_u32 v22, v52, v22, s4
	v_cndmask_b32_e32 v18, v49, v18, vcc
	v_cmp_o_f32_e32 vcc, v52, v52
	v_lshlrev_b32_e32 v53, 16, v31
	v_lshlrev_b32_e32 v52, 16, v23
	v_pk_mul_f32 v[52:53], v[34:35], v[52:53]
	v_bfe_u32 v30, v53, 16, 1
	v_lshrrev_b32_e32 v22, 16, v22
	v_bfe_u32 v26, v52, 16, 1
	v_add3_u32 v30, v53, v30, s4
	v_cndmask_b32_e32 v22, v49, v22, vcc
	v_add3_u32 v26, v52, v26, s4
	v_and_b32_e32 v30, 0xffff0000, v30
	v_cmp_o_f32_e32 vcc, v53, v53
	v_and_b32_e32 v26, 0xffff0000, v26
	v_cndmask_b32_e32 v53, v48, v30, vcc
	v_cmp_o_f32_e32 vcc, v52, v52
	v_cndmask_b32_e32 v52, v48, v26, vcc
	v_lshlrev_b32_e32 v55, 16, v27
	v_lshlrev_b32_e32 v54, 16, v19
	v_pk_mul_f32 v[52:53], v[52:53], v[54:55]
	v_bfe_u32 v26, v53, 16, 1
	v_add3_u32 v26, v53, v26, s4
	v_bfe_u32 v30, v52, 16, 1
	v_lshrrev_b32_e32 v26, 16, v26
	v_cmp_o_f32_e32 vcc, v53, v53
	v_add3_u32 v30, v52, v30, s4
	v_cndmask_b32_e32 v26, v49, v26, vcc
	v_cmp_o_f32_e32 vcc, v52, v52
	v_and_b32_e32 v53, 0xffff0000, v31
	v_and_b32_e32 v52, 0xffff0000, v23
	v_pk_mul_f32 v[52:53], v[34:35], v[52:53]
	v_bfe_u32 v31, v53, 16, 1
	v_lshrrev_b32_e32 v30, 16, v30
	v_bfe_u32 v23, v52, 16, 1
	v_add3_u32 v31, v53, v31, s4
	v_cndmask_b32_e32 v30, v49, v30, vcc
	v_add3_u32 v23, v52, v23, s4
	v_and_b32_e32 v31, 0xffff0000, v31
	v_cmp_o_f32_e32 vcc, v53, v53
	v_and_b32_e32 v23, 0xffff0000, v23
	v_cndmask_b32_e32 v53, v48, v31, vcc
	v_cmp_o_f32_e32 vcc, v52, v52
	v_cndmask_b32_e32 v52, v48, v23, vcc
	v_and_b32_e32 v55, 0xffff0000, v27
	v_and_b32_e32 v54, 0xffff0000, v19
	v_pk_mul_f32 v[52:53], v[52:53], v[54:55]
	v_bfe_u32 v19, v53, 16, 1
	v_add3_u32 v19, v53, v19, s4
	v_bfe_u32 v23, v52, 16, 1
	v_lshrrev_b32_e32 v19, 16, v19
	v_cmp_o_f32_e32 vcc, v53, v53
	v_add3_u32 v23, v52, v23, s4
	v_cndmask_b32_e32 v19, v49, v19, vcc
	v_cmp_o_f32_e32 vcc, v52, v52
	v_lshlrev_b32_e32 v53, 16, v32
	v_lshlrev_b32_e32 v52, 16, v24
	v_pk_mul_f32 v[52:53], v[34:35], v[52:53]
	v_bfe_u32 v31, v53, 16, 1
	v_lshrrev_b32_e32 v23, 16, v23
	v_bfe_u32 v27, v52, 16, 1
	v_add3_u32 v31, v53, v31, s4
	v_cndmask_b32_e32 v23, v49, v23, vcc
	v_add3_u32 v27, v52, v27, s4
	v_and_b32_e32 v31, 0xffff0000, v31
	v_cmp_o_f32_e32 vcc, v53, v53
	v_and_b32_e32 v27, 0xffff0000, v27
	v_cndmask_b32_e32 v53, v48, v31, vcc
	v_cmp_o_f32_e32 vcc, v52, v52
	v_cndmask_b32_e32 v52, v48, v27, vcc
	;; [unrolled: 52-line block ×4, first 2 shown]
	s_waitcnt vmcnt(0)
	v_lshlrev_b32_e32 v55, 16, v10
	v_lshlrev_b32_e32 v54, 16, v2
	v_pk_mul_f32 v[52:53], v[52:53], v[54:55]
	v_bfe_u32 v29, v53, 16, 1
	v_add3_u32 v29, v53, v29, s4
	v_bfe_u32 v33, v52, 16, 1
	v_lshrrev_b32_e32 v29, 16, v29
	v_cmp_o_f32_e32 vcc, v53, v53
	v_add3_u32 v33, v52, v33, s4
	v_cndmask_b32_e32 v29, v49, v29, vcc
	v_cmp_o_f32_e32 vcc, v52, v52
	v_and_b32_e32 v53, 0xffff0000, v14
	v_and_b32_e32 v52, 0xffff0000, v6
	v_pk_mul_f32 v[52:53], v[34:35], v[52:53]
	v_bfe_u32 v14, v53, 16, 1
	v_lshrrev_b32_e32 v33, 16, v33
	v_bfe_u32 v6, v52, 16, 1
	v_add3_u32 v14, v53, v14, s4
	v_cndmask_b32_e32 v33, v49, v33, vcc
	v_add3_u32 v6, v52, v6, s4
	v_and_b32_e32 v14, 0xffff0000, v14
	v_cmp_o_f32_e32 vcc, v53, v53
	v_and_b32_e32 v6, 0xffff0000, v6
	v_cndmask_b32_e32 v53, v48, v14, vcc
	v_cmp_o_f32_e32 vcc, v52, v52
	v_cndmask_b32_e32 v52, v48, v6, vcc
	v_and_b32_e32 v55, 0xffff0000, v10
	v_and_b32_e32 v54, 0xffff0000, v2
	v_pk_mul_f32 v[52:53], v[52:53], v[54:55]
	v_bfe_u32 v2, v53, 16, 1
	v_add3_u32 v2, v53, v2, s4
	v_bfe_u32 v6, v52, 16, 1
	v_lshrrev_b32_e32 v2, 16, v2
	v_cmp_o_f32_e32 vcc, v53, v53
	v_add3_u32 v6, v52, v6, s4
	v_cndmask_b32_e32 v2, v49, v2, vcc
	v_cmp_o_f32_e32 vcc, v52, v52
	v_lshlrev_b32_e32 v53, 16, v15
	v_lshlrev_b32_e32 v52, 16, v7
	v_pk_mul_f32 v[52:53], v[34:35], v[52:53]
	v_bfe_u32 v14, v53, 16, 1
	v_lshrrev_b32_e32 v6, 16, v6
	v_bfe_u32 v10, v52, 16, 1
	v_add3_u32 v14, v53, v14, s4
	v_cndmask_b32_e32 v6, v49, v6, vcc
	v_add3_u32 v10, v52, v10, s4
	v_and_b32_e32 v14, 0xffff0000, v14
	v_cmp_o_f32_e32 vcc, v53, v53
	v_and_b32_e32 v10, 0xffff0000, v10
	v_cndmask_b32_e32 v53, v48, v14, vcc
	v_cmp_o_f32_e32 vcc, v52, v52
	v_cndmask_b32_e32 v52, v48, v10, vcc
	v_lshlrev_b32_e32 v55, 16, v11
	v_lshlrev_b32_e32 v54, 16, v3
	v_pk_mul_f32 v[52:53], v[52:53], v[54:55]
	v_bfe_u32 v10, v53, 16, 1
	v_add3_u32 v10, v53, v10, s4
	v_bfe_u32 v14, v52, 16, 1
	v_lshrrev_b32_e32 v10, 16, v10
	v_cmp_o_f32_e32 vcc, v53, v53
	v_add3_u32 v14, v52, v14, s4
	v_cndmask_b32_e32 v10, v49, v10, vcc
	v_cmp_o_f32_e32 vcc, v52, v52
	v_and_b32_e32 v53, 0xffff0000, v15
	v_and_b32_e32 v52, 0xffff0000, v7
	v_pk_mul_f32 v[52:53], v[34:35], v[52:53]
	v_bfe_u32 v15, v53, 16, 1
	v_lshrrev_b32_e32 v14, 16, v14
	v_bfe_u32 v7, v52, 16, 1
	v_add3_u32 v15, v53, v15, s4
	v_cndmask_b32_e32 v14, v49, v14, vcc
	v_add3_u32 v7, v52, v7, s4
	v_and_b32_e32 v15, 0xffff0000, v15
	v_cmp_o_f32_e32 vcc, v53, v53
	v_and_b32_e32 v7, 0xffff0000, v7
	v_cndmask_b32_e32 v53, v48, v15, vcc
	v_cmp_o_f32_e32 vcc, v52, v52
	v_cndmask_b32_e32 v52, v48, v7, vcc
	v_and_b32_e32 v55, 0xffff0000, v11
	v_and_b32_e32 v54, 0xffff0000, v3
	v_pk_mul_f32 v[52:53], v[52:53], v[54:55]
	v_bfe_u32 v3, v53, 16, 1
	v_add3_u32 v3, v53, v3, s4
	v_bfe_u32 v7, v52, 16, 1
	v_lshrrev_b32_e32 v3, 16, v3
	v_cmp_o_f32_e32 vcc, v53, v53
	v_add3_u32 v7, v52, v7, s4
	v_cndmask_b32_e32 v3, v49, v3, vcc
	v_cmp_o_f32_e32 vcc, v52, v52
	v_lshlrev_b32_e32 v53, 16, v16
	v_lshlrev_b32_e32 v52, 16, v8
	v_pk_mul_f32 v[52:53], v[34:35], v[52:53]
	v_bfe_u32 v15, v53, 16, 1
	v_lshrrev_b32_e32 v7, 16, v7
	v_bfe_u32 v11, v52, 16, 1
	v_add3_u32 v15, v53, v15, s4
	v_cndmask_b32_e32 v7, v49, v7, vcc
	v_add3_u32 v11, v52, v11, s4
	v_and_b32_e32 v15, 0xffff0000, v15
	v_cmp_o_f32_e32 vcc, v53, v53
	v_and_b32_e32 v11, 0xffff0000, v11
	v_cndmask_b32_e32 v53, v48, v15, vcc
	v_cmp_o_f32_e32 vcc, v52, v52
	v_cndmask_b32_e32 v52, v48, v11, vcc
	v_lshlrev_b32_e32 v55, 16, v12
	v_lshlrev_b32_e32 v54, 16, v4
	v_pk_mul_f32 v[52:53], v[52:53], v[54:55]
	v_bfe_u32 v11, v53, 16, 1
	v_add3_u32 v11, v53, v11, s4
	v_bfe_u32 v15, v52, 16, 1
	v_lshrrev_b32_e32 v11, 16, v11
	v_cmp_o_f32_e32 vcc, v53, v53
	v_add3_u32 v15, v52, v15, s4
	v_cndmask_b32_e32 v11, v49, v11, vcc
	v_cmp_o_f32_e32 vcc, v52, v52
	v_and_b32_e32 v53, 0xffff0000, v16
	v_and_b32_e32 v52, 0xffff0000, v8
	v_pk_mul_f32 v[52:53], v[34:35], v[52:53]
	v_bfe_u32 v16, v53, 16, 1
	v_lshrrev_b32_e32 v15, 16, v15
	v_bfe_u32 v8, v52, 16, 1
	v_add3_u32 v16, v53, v16, s4
	v_cndmask_b32_e32 v15, v49, v15, vcc
	v_add3_u32 v8, v52, v8, s4
	v_and_b32_e32 v16, 0xffff0000, v16
	v_cmp_o_f32_e32 vcc, v53, v53
	v_and_b32_e32 v8, 0xffff0000, v8
	v_cndmask_b32_e32 v53, v48, v16, vcc
	v_cmp_o_f32_e32 vcc, v52, v52
	v_cndmask_b32_e32 v52, v48, v8, vcc
	v_and_b32_e32 v55, 0xffff0000, v12
	v_and_b32_e32 v54, 0xffff0000, v4
	v_pk_mul_f32 v[52:53], v[52:53], v[54:55]
	v_bfe_u32 v4, v53, 16, 1
	v_add3_u32 v4, v53, v4, s4
	v_bfe_u32 v8, v52, 16, 1
	v_lshrrev_b32_e32 v4, 16, v4
	v_cmp_o_f32_e32 vcc, v53, v53
	v_add3_u32 v8, v52, v8, s4
	v_cndmask_b32_e32 v56, v49, v4, vcc
	v_cmp_o_f32_e32 vcc, v52, v52
	v_lshlrev_b32_e32 v53, 16, v17
	v_lshlrev_b32_e32 v52, 16, v9
	v_lshrrev_b32_e32 v8, 16, v8
	v_pk_mul_f32 v[52:53], v[34:35], v[52:53]
	v_cndmask_b32_e32 v57, v49, v8, vcc
	v_bfe_u32 v8, v53, 16, 1
	v_bfe_u32 v4, v52, 16, 1
	v_add3_u32 v8, v53, v8, s4
	v_add3_u32 v4, v52, v4, s4
	v_and_b32_e32 v8, 0xffff0000, v8
	v_cmp_o_f32_e32 vcc, v53, v53
	v_and_b32_e32 v4, 0xffff0000, v4
	v_cndmask_b32_e32 v53, v48, v8, vcc
	v_cmp_o_f32_e32 vcc, v52, v52
	v_cndmask_b32_e32 v52, v48, v4, vcc
	v_lshlrev_b32_e32 v55, 16, v13
	v_lshlrev_b32_e32 v54, 16, v5
	v_pk_mul_f32 v[52:53], v[52:53], v[54:55]
	v_bfe_u32 v4, v53, 16, 1
	v_bfe_u32 v8, v52, 16, 1
	v_add3_u32 v4, v53, v4, s4
	v_add3_u32 v8, v52, v8, s4
	v_lshrrev_b32_e32 v4, 16, v4
	v_cmp_o_f32_e32 vcc, v53, v53
	v_lshrrev_b32_e32 v8, 16, v8
	v_cndmask_b32_e32 v53, v49, v4, vcc
	v_cmp_o_f32_e32 vcc, v52, v52
	v_and_b32_e32 v17, 0xffff0000, v17
	v_and_b32_e32 v16, 0xffff0000, v9
	v_cndmask_b32_e32 v52, v49, v8, vcc
	v_pk_mul_f32 v[8:9], v[34:35], v[16:17]
	v_bfe_u32 v12, v9, 16, 1
	v_bfe_u32 v4, v8, 16, 1
	v_add3_u32 v12, v9, v12, s4
	v_add3_u32 v4, v8, v4, s4
	v_and_b32_e32 v12, 0xffff0000, v12
	v_cmp_o_f32_e32 vcc, v9, v9
	v_and_b32_e32 v4, 0xffff0000, v4
	v_cndmask_b32_e32 v9, v48, v12, vcc
	v_cmp_o_f32_e32 vcc, v8, v8
	v_cndmask_b32_e32 v8, v48, v4, vcc
	v_and_b32_e32 v13, 0xffff0000, v13
	v_and_b32_e32 v12, 0xffff0000, v5
	v_pk_mul_f32 v[4:5], v[8:9], v[12:13]
	v_bfe_u32 v8, v5, 16, 1
	v_bfe_u32 v9, v4, 16, 1
	v_add3_u32 v8, v5, v8, s4
	v_add3_u32 v9, v4, v9, s4
	v_lshrrev_b32_e32 v8, 16, v8
	v_cmp_o_f32_e32 vcc, v5, v5
	v_lshrrev_b32_e32 v9, 16, v9
	v_cndmask_b32_e32 v16, v49, v8, vcc
	v_cmp_o_f32_e32 vcc, v4, v4
	v_cndmask_b32_e32 v17, v49, v9, vcc
	v_add_co_u32_e32 v8, vcc, s39, v40
	v_addc_co_u32_e32 v9, vcc, v50, v41, vcc
	v_add_co_u32_e32 v12, vcc, s39, v42
	v_addc_co_u32_e32 v13, vcc, v50, v43, vcc
	v_perm_b32 v5, v7, v14, s5
	v_perm_b32 v4, v6, v33, s5
	;; [unrolled: 1-line block ×4, first 2 shown]
	v_cmp_eq_u32_e32 vcc, 0, v51
	v_perm_b32 v23, v23, v30, s5
	v_perm_b32 v22, v22, v36, s5
	v_perm_b32 v25, v25, v32, s5
	v_perm_b32 v24, v24, v31, s5
	v_perm_b32 v21, v21, v28, s5
	v_perm_b32 v20, v20, v27, s5
	v_perm_b32 v19, v19, v26, s5
	v_perm_b32 v18, v18, v1, s5
	global_store_dwordx4 v[8:9], v[4:7], off offset:16
	v_perm_b32 v3, v3, v10, s5
	v_perm_b32 v5, v16, v53, s5
	;; [unrolled: 1-line block ×4, first 2 shown]
	s_or_b64 s[2:3], vcc, s[2:3]
	global_store_dwordx4 v[8:9], v[22:25], off
	global_store_dwordx4 v[12:13], v[18:21], off
	global_store_dwordx4 v[12:13], v[2:5], off offset:16
	s_andn2_b64 exec, exec, s[2:3]
	s_cbranch_execnz .LBB40_35
; %bb.36:
	s_or_b64 exec, exec, s[2:3]
	v_cmp_ne_u32_e32 vcc, v44, v45
	v_add_u32_e32 v0, v0, v45
	s_orn2_b64 s[2:3], vcc, exec
.LBB40_37:
	s_or_b64 exec, exec, s[0:1]
	s_and_b64 exec, exec, s[2:3]
	s_cbranch_execz .LBB40_40
; %bb.38:
	v_mov_b32_e32 v1, 0
	s_waitcnt lgkmcnt(0)
	v_mov_b32_e32 v35, v34
	v_lshlrev_b64 v[2:3], 5, v[0:1]
	s_lshl_b32 s41, s37, 5
	s_mov_b64 s[34:35], 0
	v_mov_b32_e32 v4, v34
	v_mov_b32_e32 v5, v34
	s_movk_i32 s42, 0x7fff
	v_mov_b32_e32 v1, 0x7fc00000
	v_mov_b32_e32 v10, 0x7fc0
	s_mov_b32 s43, 0x5040100
.LBB40_39:                              ; =>This Inner Loop Header: Depth=1
	v_mov_b32_e32 v7, s36
	v_add_co_u32_e64 v28, s[2:3], s33, v2
	v_mov_b32_e32 v9, s31
	v_add_co_u32_e32 v8, vcc, s30, v2
	v_addc_co_u32_e64 v29, s[2:3], v7, v3, s[2:3]
	v_addc_co_u32_e32 v9, vcc, v9, v3, vcc
	global_load_dwordx4 v[12:15], v[28:29], off
	global_load_dwordx4 v[16:19], v[8:9], off
	global_load_dwordx4 v[20:23], v[28:29], off offset:16
	global_load_dwordx4 v[24:27], v[8:9], off offset:16
	v_add_co_u32_e64 v6, s[0:1], s39, v2
	s_add_u32 s39, s39, s41
	v_mov_b32_e32 v11, s40
	s_addc_u32 s40, s40, 0
	s_add_u32 s33, s33, s41
	s_addc_u32 s36, s36, 0
	v_add_u32_e32 v0, s37, v0
	v_addc_co_u32_e64 v7, vcc, v11, v3, s[0:1]
	s_add_u32 s30, s30, s41
	v_cmp_le_i32_e32 vcc, s38, v0
	s_addc_u32 s31, s31, 0
	s_or_b64 s[34:35], vcc, s[34:35]
	s_waitcnt vmcnt(3)
	v_and_b32_e32 v9, 0xffff0000, v13
	v_lshlrev_b32_e32 v8, 16, v13
	v_and_b32_e32 v13, 0xffff0000, v12
	v_lshlrev_b32_e32 v12, 16, v12
	v_and_b32_e32 v31, 0xffff0000, v15
	v_lshlrev_b32_e32 v30, 16, v15
	v_and_b32_e32 v15, 0xffff0000, v14
	v_lshlrev_b32_e32 v14, 16, v14
	s_waitcnt vmcnt(1)
	v_and_b32_e32 v37, 0xffff0000, v21
	v_lshlrev_b32_e32 v36, 16, v21
	v_and_b32_e32 v21, 0xffff0000, v20
	v_lshlrev_b32_e32 v20, 16, v20
	;; [unrolled: 2-line block ×4, first 2 shown]
	v_pk_mul_f32 v[12:13], v[34:35], v[12:13]
	v_pk_mul_f32 v[8:9], v[4:5], v[8:9]
	v_pk_mul_f32 v[14:15], v[34:35], v[14:15]
	v_pk_mul_f32 v[30:31], v[4:5], v[30:31]
	v_pk_mul_f32 v[20:21], v[34:35], v[20:21]
	v_pk_mul_f32 v[36:37], v[4:5], v[36:37]
	v_pk_mul_f32 v[22:23], v[34:35], v[22:23]
	v_pk_mul_f32 v[40:41], v[4:5], v[40:41]
	v_bfe_u32 v11, v12, 16, 1
	v_bfe_u32 v44, v13, 16, 1
	;; [unrolled: 1-line block ×16, first 2 shown]
	v_add3_u32 v46, v9, v46, s42
	v_add3_u32 v45, v8, v45, s42
	;; [unrolled: 1-line block ×16, first 2 shown]
	v_and_b32_e32 v11, 0xffff0000, v11
	v_and_b32_e32 v44, 0xffff0000, v44
	;; [unrolled: 1-line block ×4, first 2 shown]
	v_cmp_o_f32_e32 vcc, v8, v8
	v_cmp_o_f32_e64 s[0:1], v13, v13
	v_cmp_o_f32_e64 s[2:3], v12, v12
	v_and_b32_e32 v47, 0xffff0000, v47
	v_and_b32_e32 v48, 0xffff0000, v48
	;; [unrolled: 1-line block ×4, first 2 shown]
	v_cmp_o_f32_e64 s[4:5], v31, v31
	v_cmp_o_f32_e64 s[6:7], v30, v30
	;; [unrolled: 1-line block ×5, first 2 shown]
	v_and_b32_e32 v29, 0xffff0000, v17
	v_lshlrev_b32_e32 v28, 16, v17
	v_and_b32_e32 v17, 0xffff0000, v16
	v_lshlrev_b32_e32 v16, 16, v16
	;; [unrolled: 2-line block ×4, first 2 shown]
	v_and_b32_e32 v30, 0xffff0000, v51
	v_and_b32_e32 v31, 0xffff0000, v52
	;; [unrolled: 1-line block ×4, first 2 shown]
	v_cmp_o_f32_e64 s[12:13], v37, v37
	v_cmp_o_f32_e64 s[14:15], v36, v36
	;; [unrolled: 1-line block ×4, first 2 shown]
	v_and_b32_e32 v53, 0xffff0000, v55
	v_and_b32_e32 v54, 0xffff0000, v56
	;; [unrolled: 1-line block ×4, first 2 shown]
	v_cmp_o_f32_e64 s[20:21], v41, v41
	v_cmp_o_f32_e64 s[22:23], v40, v40
	;; [unrolled: 1-line block ×4, first 2 shown]
	v_cndmask_b32_e64 v9, v1, v46, s[28:29]
	v_cndmask_b32_e32 v8, v1, v45, vcc
	v_cndmask_b32_e64 v13, v1, v44, s[0:1]
	v_cndmask_b32_e64 v12, v1, v11, s[2:3]
	;; [unrolled: 1-line block ×6, first 2 shown]
	s_waitcnt vmcnt(0)
	v_and_b32_e32 v39, 0xffff0000, v25
	v_lshlrev_b32_e32 v38, 16, v25
	v_and_b32_e32 v25, 0xffff0000, v24
	v_lshlrev_b32_e32 v24, 16, v24
	v_and_b32_e32 v43, 0xffff0000, v27
	v_lshlrev_b32_e32 v42, 16, v27
	v_and_b32_e32 v27, 0xffff0000, v26
	v_lshlrev_b32_e32 v26, 16, v26
	v_cndmask_b32_e64 v23, v1, v52, s[12:13]
	v_cndmask_b32_e64 v22, v1, v51, s[14:15]
	;; [unrolled: 1-line block ×8, first 2 shown]
	v_pk_mul_f32 v[12:13], v[12:13], v[16:17]
	v_pk_mul_f32 v[8:9], v[8:9], v[28:29]
	;; [unrolled: 1-line block ×8, first 2 shown]
	v_bfe_u32 v11, v12, 16, 1
	v_bfe_u32 v26, v13, 16, 1
	;; [unrolled: 1-line block ×16, first 2 shown]
	v_add3_u32 v28, v9, v28, s42
	v_add3_u32 v27, v8, v27, s42
	;; [unrolled: 1-line block ×16, first 2 shown]
	v_lshrrev_b32_e32 v11, 16, v11
	v_lshrrev_b32_e32 v26, 16, v26
	;; [unrolled: 1-line block ×4, first 2 shown]
	v_cmp_o_f32_e32 vcc, v13, v13
	v_cmp_o_f32_e64 s[0:1], v8, v8
	v_cmp_o_f32_e64 s[2:3], v9, v9
	v_lshrrev_b32_e32 v8, 16, v29
	v_lshrrev_b32_e32 v9, 16, v30
	;; [unrolled: 1-line block ×4, first 2 shown]
	v_cmp_o_f32_e64 s[4:5], v16, v16
	v_cmp_o_f32_e64 s[6:7], v17, v17
	v_cmp_o_f32_e64 s[8:9], v14, v14
	v_cmp_o_f32_e64 s[10:11], v15, v15
	v_cmp_o_f32_e64 s[28:29], v12, v12
	v_lshrrev_b32_e32 v14, 16, v33
	v_lshrrev_b32_e32 v15, 16, v36
	;; [unrolled: 1-line block ×4, first 2 shown]
	v_cmp_o_f32_e64 s[12:13], v18, v18
	v_cmp_o_f32_e64 s[14:15], v19, v19
	;; [unrolled: 1-line block ×4, first 2 shown]
	v_lshrrev_b32_e32 v18, 16, v39
	v_lshrrev_b32_e32 v19, 16, v40
	;; [unrolled: 1-line block ×4, first 2 shown]
	v_cmp_o_f32_e64 s[20:21], v22, v22
	v_cmp_o_f32_e64 s[22:23], v23, v23
	;; [unrolled: 1-line block ×4, first 2 shown]
	v_cndmask_b32_e64 v11, v10, v11, s[28:29]
	v_cndmask_b32_e32 v12, v10, v26, vcc
	v_cndmask_b32_e64 v22, v10, v27, s[0:1]
	v_cndmask_b32_e64 v23, v10, v28, s[2:3]
	;; [unrolled: 1-line block ×14, first 2 shown]
	v_perm_b32 v15, v24, v13, s43
	v_perm_b32 v14, v9, v8, s43
	;; [unrolled: 1-line block ×8, first 2 shown]
	global_store_dwordx4 v[6:7], v[12:15], off
	global_store_dwordx4 v[6:7], v[16:19], off offset:16
	s_andn2_b64 exec, exec, s[34:35]
	s_cbranch_execnz .LBB40_39
.LBB40_40:
	s_endpgm
.LBB40_41:
                                        ; implicit-def: $sgpr16_sgpr17
	s_branch .LBB40_2
.LBB40_42:
                                        ; implicit-def: $sgpr20_sgpr21
	s_branch .LBB40_5
	.section	.rodata,"a",@progbits
	.p2align	6, 0x0
	.amdhsa_kernel _ZN4vllm15rms_norm_kernelIN3c108BFloat16ELi16ELi4EEEvPT_PKS3_lllllS6_fii
		.amdhsa_group_segment_fixed_size 68
		.amdhsa_private_segment_fixed_size 0
		.amdhsa_kernarg_size 336
		.amdhsa_user_sgpr_count 6
		.amdhsa_user_sgpr_private_segment_buffer 1
		.amdhsa_user_sgpr_dispatch_ptr 0
		.amdhsa_user_sgpr_queue_ptr 0
		.amdhsa_user_sgpr_kernarg_segment_ptr 1
		.amdhsa_user_sgpr_dispatch_id 0
		.amdhsa_user_sgpr_flat_scratch_init 0
		.amdhsa_user_sgpr_kernarg_preload_length 0
		.amdhsa_user_sgpr_kernarg_preload_offset 0
		.amdhsa_user_sgpr_private_segment_size 0
		.amdhsa_uses_dynamic_stack 0
		.amdhsa_system_sgpr_private_segment_wavefront_offset 0
		.amdhsa_system_sgpr_workgroup_id_x 1
		.amdhsa_system_sgpr_workgroup_id_y 0
		.amdhsa_system_sgpr_workgroup_id_z 0
		.amdhsa_system_sgpr_workgroup_info 0
		.amdhsa_system_vgpr_workitem_id 0
		.amdhsa_next_free_vgpr 59
		.amdhsa_next_free_sgpr 44
		.amdhsa_accum_offset 60
		.amdhsa_reserve_vcc 1
		.amdhsa_reserve_flat_scratch 0
		.amdhsa_float_round_mode_32 0
		.amdhsa_float_round_mode_16_64 0
		.amdhsa_float_denorm_mode_32 3
		.amdhsa_float_denorm_mode_16_64 3
		.amdhsa_dx10_clamp 1
		.amdhsa_ieee_mode 1
		.amdhsa_fp16_overflow 0
		.amdhsa_tg_split 0
		.amdhsa_exception_fp_ieee_invalid_op 0
		.amdhsa_exception_fp_denorm_src 0
		.amdhsa_exception_fp_ieee_div_zero 0
		.amdhsa_exception_fp_ieee_overflow 0
		.amdhsa_exception_fp_ieee_underflow 0
		.amdhsa_exception_fp_ieee_inexact 0
		.amdhsa_exception_int_div_zero 0
	.end_amdhsa_kernel
	.section	.text._ZN4vllm15rms_norm_kernelIN3c108BFloat16ELi16ELi4EEEvPT_PKS3_lllllS6_fii,"axG",@progbits,_ZN4vllm15rms_norm_kernelIN3c108BFloat16ELi16ELi4EEEvPT_PKS3_lllllS6_fii,comdat
.Lfunc_end40:
	.size	_ZN4vllm15rms_norm_kernelIN3c108BFloat16ELi16ELi4EEEvPT_PKS3_lllllS6_fii, .Lfunc_end40-_ZN4vllm15rms_norm_kernelIN3c108BFloat16ELi16ELi4EEEvPT_PKS3_lllllS6_fii
                                        ; -- End function
	.section	.AMDGPU.csdata,"",@progbits
; Kernel info:
; codeLenInByte = 8496
; NumSgprs: 48
; NumVgprs: 59
; NumAgprs: 0
; TotalNumVgprs: 59
; ScratchSize: 0
; MemoryBound: 0
; FloatMode: 240
; IeeeMode: 1
; LDSByteSize: 68 bytes/workgroup (compile time only)
; SGPRBlocks: 5
; VGPRBlocks: 7
; NumSGPRsForWavesPerEU: 48
; NumVGPRsForWavesPerEU: 59
; AccumOffset: 60
; Occupancy: 8
; WaveLimiterHint : 0
; COMPUTE_PGM_RSRC2:SCRATCH_EN: 0
; COMPUTE_PGM_RSRC2:USER_SGPR: 6
; COMPUTE_PGM_RSRC2:TRAP_HANDLER: 0
; COMPUTE_PGM_RSRC2:TGID_X_EN: 1
; COMPUTE_PGM_RSRC2:TGID_Y_EN: 0
; COMPUTE_PGM_RSRC2:TGID_Z_EN: 0
; COMPUTE_PGM_RSRC2:TIDIG_COMP_CNT: 0
; COMPUTE_PGM_RSRC3_GFX90A:ACCUM_OFFSET: 14
; COMPUTE_PGM_RSRC3_GFX90A:TG_SPLIT: 0
	.section	.text._ZN4vllm15rms_norm_kernelIN3c108BFloat16ELi8ELi4EEEvPT_PKS3_lllllS6_fii,"axG",@progbits,_ZN4vllm15rms_norm_kernelIN3c108BFloat16ELi8ELi4EEEvPT_PKS3_lllllS6_fii,comdat
	.protected	_ZN4vllm15rms_norm_kernelIN3c108BFloat16ELi8ELi4EEEvPT_PKS3_lllllS6_fii ; -- Begin function _ZN4vllm15rms_norm_kernelIN3c108BFloat16ELi8ELi4EEEvPT_PKS3_lllllS6_fii
	.globl	_ZN4vllm15rms_norm_kernelIN3c108BFloat16ELi8ELi4EEEvPT_PKS3_lllllS6_fii
	.p2align	8
	.type	_ZN4vllm15rms_norm_kernelIN3c108BFloat16ELi8ELi4EEEvPT_PKS3_lllllS6_fii,@function
_ZN4vllm15rms_norm_kernelIN3c108BFloat16ELi8ELi4EEEvPT_PKS3_lllllS6_fii: ; @_ZN4vllm15rms_norm_kernelIN3c108BFloat16ELi8ELi4EEEvPT_PKS3_lllllS6_fii
; %bb.0:
	s_load_dwordx8 s[8:15], s[4:5], 0x10
	s_load_dwordx2 s[2:3], s[4:5], 0x30
	s_mov_b32 s0, 0
	s_waitcnt lgkmcnt(0)
	s_mul_i32 s1, s2, s15
	s_mul_hi_u32 s7, s2, s14
	s_add_i32 s1, s7, s1
	s_mul_i32 s3, s3, s14
	s_add_i32 s1, s1, s3
	s_cmp_lg_u64 s[0:1], 0
	s_mul_i32 s7, s2, s14
	s_cbranch_scc0 .LBB41_41
; %bb.1:
	s_ashr_i32 s16, s1, 31
	s_add_u32 s0, s7, s16
	s_mov_b32 s17, s16
	s_addc_u32 s1, s1, s16
	s_xor_b64 s[2:3], s[0:1], s[16:17]
	v_cvt_f32_u32_e32 v1, s2
	v_cvt_f32_u32_e32 v2, s3
	s_sub_u32 s0, 0, s2
	s_subb_u32 s1, 0, s3
	v_madmk_f32 v1, v2, 0x4f800000, v1
	v_rcp_f32_e32 v1, v1
	v_mul_f32_e32 v1, 0x5f7ffffc, v1
	v_mul_f32_e32 v2, 0x2f800000, v1
	v_trunc_f32_e32 v2, v2
	v_madmk_f32 v1, v2, 0xcf800000, v1
	v_cvt_u32_f32_e32 v2, v2
	v_cvt_u32_f32_e32 v1, v1
	v_readfirstlane_b32 s20, v2
	v_readfirstlane_b32 s21, v1
	s_mul_i32 s22, s0, s20
	s_mul_hi_u32 s24, s0, s21
	s_mul_i32 s23, s1, s21
	s_add_i32 s22, s24, s22
	s_add_i32 s22, s22, s23
	s_mul_i32 s25, s0, s21
	s_mul_hi_u32 s23, s21, s22
	s_mul_i32 s24, s21, s22
	s_mul_hi_u32 s21, s21, s25
	s_add_u32 s21, s21, s24
	s_addc_u32 s23, 0, s23
	s_mul_hi_u32 s26, s20, s25
	s_mul_i32 s25, s20, s25
	s_add_u32 s21, s21, s25
	s_mul_hi_u32 s24, s20, s22
	s_addc_u32 s21, s23, s26
	s_addc_u32 s23, s24, 0
	s_mul_i32 s22, s20, s22
	s_add_u32 s21, s21, s22
	s_addc_u32 s22, 0, s23
	v_add_co_u32_e32 v1, vcc, s21, v1
	s_cmp_lg_u64 vcc, 0
	s_addc_u32 s20, s20, s22
	v_readfirstlane_b32 s22, v1
	s_mul_i32 s21, s0, s20
	s_mul_hi_u32 s23, s0, s22
	s_add_i32 s21, s23, s21
	s_mul_i32 s1, s1, s22
	s_add_i32 s21, s21, s1
	s_mul_i32 s0, s0, s22
	s_mul_hi_u32 s23, s20, s0
	s_mul_i32 s24, s20, s0
	s_mul_i32 s26, s22, s21
	s_mul_hi_u32 s0, s22, s0
	s_mul_hi_u32 s25, s22, s21
	s_add_u32 s0, s0, s26
	s_addc_u32 s22, 0, s25
	s_add_u32 s0, s0, s24
	s_mul_hi_u32 s1, s20, s21
	s_addc_u32 s0, s22, s23
	s_addc_u32 s1, s1, 0
	s_mul_i32 s21, s20, s21
	s_add_u32 s0, s0, s21
	s_addc_u32 s1, 0, s1
	v_add_co_u32_e32 v1, vcc, s0, v1
	s_cmp_lg_u64 vcc, 0
	s_addc_u32 s0, s20, s1
	v_readfirstlane_b32 s20, v1
	s_mul_hi_u32 s1, s6, s0
	s_mul_i32 s0, s6, s0
	s_mul_hi_u32 s20, s6, s20
	s_add_u32 s0, s20, s0
	s_addc_u32 s1, 0, s1
	s_add_u32 s0, s0, 0
	s_addc_u32 s0, s1, 0
	s_addc_u32 s1, 0, 0
	s_add_u32 s20, s0, 0
	s_addc_u32 s21, 0, s1
	s_mul_i32 s0, s2, s21
	s_mul_hi_u32 s1, s2, s20
	s_add_i32 s0, s1, s0
	s_mul_i32 s1, s3, s20
	s_add_i32 s22, s0, s1
	s_mul_i32 s1, s2, s20
	v_mov_b32_e32 v1, s1
	s_sub_i32 s0, 0, s22
	v_sub_co_u32_e32 v1, vcc, s6, v1
	s_cmp_lg_u64 vcc, 0
	s_subb_u32 s23, s0, s3
	v_subrev_co_u32_e64 v2, s[0:1], s2, v1
	s_cmp_lg_u64 s[0:1], 0
	s_subb_u32 s0, s23, 0
	s_cmp_ge_u32 s0, s3
	v_readfirstlane_b32 s23, v2
	s_cselect_b32 s1, -1, 0
	s_cmp_ge_u32 s23, s2
	s_cselect_b32 s23, -1, 0
	s_cmp_eq_u32 s0, s3
	s_cselect_b32 s0, s23, s1
	s_add_u32 s1, s20, 1
	s_addc_u32 s23, s21, 0
	s_add_u32 s24, s20, 2
	s_addc_u32 s25, s21, 0
	s_cmp_lg_u32 s0, 0
	s_cselect_b32 s0, s24, s1
	s_cselect_b32 s1, s25, s23
	s_cmp_lg_u64 vcc, 0
	s_subb_u32 s22, 0, s22
	s_cmp_ge_u32 s22, s3
	v_readfirstlane_b32 s24, v1
	s_cselect_b32 s23, -1, 0
	s_cmp_ge_u32 s24, s2
	s_cselect_b32 s2, -1, 0
	s_cmp_eq_u32 s22, s3
	s_cselect_b32 s2, s2, s23
	s_cmp_lg_u32 s2, 0
	s_cselect_b32 s1, s1, s21
	s_cselect_b32 s0, s0, s20
	s_xor_b64 s[0:1], s[0:1], s[16:17]
	s_sub_u32 s2, s0, s16
	s_subb_u32 s3, s1, s16
	s_cbranch_execnz .LBB41_3
.LBB41_2:
	v_cvt_f32_u32_e32 v1, s7
	s_sub_i32 s0, 0, s7
	s_mov_b32 s3, 0
	v_rcp_iflag_f32_e32 v1, v1
	v_mul_f32_e32 v1, 0x4f7ffffe, v1
	v_cvt_u32_f32_e32 v1, v1
	v_readfirstlane_b32 s1, v1
	s_mul_i32 s0, s0, s1
	s_mul_hi_u32 s0, s1, s0
	s_add_i32 s1, s1, s0
	s_mul_hi_u32 s0, s6, s1
	s_mul_i32 s2, s0, s7
	s_sub_i32 s2, s6, s2
	s_add_i32 s1, s0, 1
	s_sub_i32 s16, s2, s7
	s_cmp_ge_u32 s2, s7
	s_cselect_b32 s0, s1, s0
	s_cselect_b32 s2, s16, s2
	s_add_i32 s1, s0, 1
	s_cmp_ge_u32 s2, s7
	s_cselect_b32 s2, s1, s0
.LBB41_3:
	s_mul_i32 s0, s2, s7
	s_load_dwordx2 s[30:31], s[4:5], 0x8
	s_sub_i32 s16, s6, s0
	s_ashr_i32 s17, s16, 31
	s_or_b64 s[0:1], s[16:17], s[14:15]
	s_mov_b32 s0, 0
	s_cmp_lg_u64 s[0:1], 0
	s_cbranch_scc0 .LBB41_42
; %bb.4:
	s_ashr_i32 s18, s15, 31
	s_add_u32 s0, s14, s18
	s_mov_b32 s19, s18
	s_addc_u32 s1, s15, s18
	s_xor_b64 s[22:23], s[0:1], s[18:19]
	v_cvt_f32_u32_e32 v1, s22
	v_cvt_f32_u32_e32 v2, s23
	s_sub_u32 s0, 0, s22
	s_subb_u32 s1, 0, s23
	v_madmk_f32 v1, v2, 0x4f800000, v1
	v_rcp_f32_e32 v1, v1
	v_mul_f32_e32 v1, 0x5f7ffffc, v1
	v_mul_f32_e32 v2, 0x2f800000, v1
	v_trunc_f32_e32 v2, v2
	v_madmk_f32 v1, v2, 0xcf800000, v1
	v_cvt_u32_f32_e32 v2, v2
	v_cvt_u32_f32_e32 v1, v1
	v_readfirstlane_b32 s7, v2
	v_readfirstlane_b32 s24, v1
	s_mul_i32 s25, s0, s7
	s_mul_hi_u32 s27, s0, s24
	s_mul_i32 s26, s1, s24
	s_add_i32 s25, s27, s25
	s_add_i32 s25, s25, s26
	s_mul_i32 s28, s0, s24
	s_mul_hi_u32 s26, s24, s25
	s_mul_i32 s27, s24, s25
	s_mul_hi_u32 s24, s24, s28
	s_add_u32 s24, s24, s27
	s_addc_u32 s26, 0, s26
	s_mul_hi_u32 s29, s7, s28
	s_mul_i32 s28, s7, s28
	s_add_u32 s24, s24, s28
	s_mul_hi_u32 s27, s7, s25
	s_addc_u32 s24, s26, s29
	s_addc_u32 s26, s27, 0
	s_mul_i32 s25, s7, s25
	s_add_u32 s24, s24, s25
	s_addc_u32 s25, 0, s26
	v_add_co_u32_e32 v1, vcc, s24, v1
	s_cmp_lg_u64 vcc, 0
	s_addc_u32 s7, s7, s25
	v_readfirstlane_b32 s25, v1
	s_mul_i32 s24, s0, s7
	s_mul_hi_u32 s26, s0, s25
	s_add_i32 s24, s26, s24
	s_mul_i32 s1, s1, s25
	s_add_i32 s24, s24, s1
	s_mul_i32 s0, s0, s25
	s_mul_hi_u32 s26, s7, s0
	s_mul_i32 s27, s7, s0
	s_mul_i32 s29, s25, s24
	s_mul_hi_u32 s0, s25, s0
	s_mul_hi_u32 s28, s25, s24
	s_add_u32 s0, s0, s29
	s_addc_u32 s25, 0, s28
	s_add_u32 s0, s0, s27
	s_mul_hi_u32 s1, s7, s24
	s_addc_u32 s0, s25, s26
	s_addc_u32 s1, s1, 0
	s_mul_i32 s24, s7, s24
	s_add_u32 s0, s0, s24
	s_addc_u32 s1, 0, s1
	v_add_co_u32_e32 v1, vcc, s0, v1
	s_cmp_lg_u64 vcc, 0
	s_addc_u32 s7, s7, s1
	s_add_u32 s0, s16, s17
	s_mov_b32 s24, s17
	s_mov_b32 s25, s17
	s_addc_u32 s1, s17, s17
	s_xor_b64 s[26:27], s[0:1], s[24:25]
	v_readfirstlane_b32 s28, v1
	s_mul_i32 s1, s26, s7
	s_mul_hi_u32 s29, s26, s28
	s_mul_hi_u32 s0, s26, s7
	s_add_u32 s1, s29, s1
	s_addc_u32 s0, 0, s0
	s_mul_hi_u32 s33, s27, s28
	s_mul_i32 s28, s27, s28
	s_add_u32 s1, s1, s28
	s_mul_hi_u32 s29, s27, s7
	s_addc_u32 s0, s0, s33
	s_addc_u32 s1, s29, 0
	s_mul_i32 s7, s27, s7
	s_add_u32 s7, s0, s7
	s_addc_u32 s28, 0, s1
	s_mul_i32 s0, s22, s28
	s_mul_hi_u32 s1, s22, s7
	s_add_i32 s0, s1, s0
	s_mul_i32 s1, s23, s7
	s_add_i32 s29, s0, s1
	s_mul_i32 s1, s22, s7
	v_mov_b32_e32 v1, s1
	s_sub_i32 s0, s27, s29
	v_sub_co_u32_e32 v1, vcc, s26, v1
	s_cmp_lg_u64 vcc, 0
	s_subb_u32 s26, s0, s23
	v_subrev_co_u32_e64 v2, s[0:1], s22, v1
	s_cmp_lg_u64 s[0:1], 0
	s_subb_u32 s0, s26, 0
	s_cmp_ge_u32 s0, s23
	v_readfirstlane_b32 s26, v2
	s_cselect_b32 s1, -1, 0
	s_cmp_ge_u32 s26, s22
	s_cselect_b32 s26, -1, 0
	s_cmp_eq_u32 s0, s23
	s_cselect_b32 s0, s26, s1
	s_add_u32 s1, s7, 1
	s_addc_u32 s26, s28, 0
	s_add_u32 s33, s7, 2
	s_addc_u32 s34, s28, 0
	s_cmp_lg_u32 s0, 0
	s_cselect_b32 s0, s33, s1
	s_cselect_b32 s1, s34, s26
	s_cmp_lg_u64 vcc, 0
	s_subb_u32 s26, s27, s29
	s_cmp_ge_u32 s26, s23
	v_readfirstlane_b32 s29, v1
	s_cselect_b32 s27, -1, 0
	s_cmp_ge_u32 s29, s22
	s_cselect_b32 s22, -1, 0
	s_cmp_eq_u32 s26, s23
	s_cselect_b32 s22, s22, s27
	s_cmp_lg_u32 s22, 0
	s_cselect_b32 s1, s1, s28
	s_cselect_b32 s0, s0, s7
	s_xor_b64 s[18:19], s[24:25], s[18:19]
	s_xor_b64 s[0:1], s[0:1], s[18:19]
	s_sub_u32 s0, s0, s18
	s_subb_u32 s1, s1, s19
	s_cbranch_execnz .LBB41_6
.LBB41_5:
	v_cvt_f32_u32_e32 v1, s14
	s_sub_i32 s0, 0, s14
	s_mov_b32 s1, 0
	v_rcp_iflag_f32_e32 v1, v1
	v_mul_f32_e32 v1, 0x4f7ffffe, v1
	v_cvt_u32_f32_e32 v1, v1
	v_readfirstlane_b32 s7, v1
	s_mul_i32 s0, s0, s7
	s_mul_hi_u32 s0, s7, s0
	s_add_i32 s7, s7, s0
	s_mul_hi_u32 s0, s16, s7
	s_mul_i32 s18, s0, s14
	s_sub_i32 s18, s16, s18
	s_add_i32 s7, s0, 1
	s_sub_i32 s19, s18, s14
	s_cmp_ge_u32 s18, s14
	s_cselect_b32 s0, s7, s0
	s_cselect_b32 s18, s19, s18
	s_add_i32 s7, s0, 1
	s_cmp_ge_u32 s18, s14
	s_cselect_b32 s0, s7, s0
.LBB41_6:
	s_mul_i32 s7, s0, s15
	s_mul_hi_u32 s15, s0, s14
	s_add_i32 s7, s15, s7
	s_mul_i32 s15, s1, s14
	s_add_i32 s7, s7, s15
	s_mul_i32 s14, s0, s14
	s_sub_u32 s16, s16, s14
	s_subb_u32 s7, s17, s7
	s_bfe_i64 s[14:15], s[2:3], 0x200000
	s_mul_i32 s3, s2, s13
	s_mul_hi_u32 s13, s2, s12
	s_add_i32 s3, s13, s3
	s_mul_i32 s13, s15, s12
	s_add_i32 s3, s3, s13
	s_mul_i32 s2, s2, s12
	s_lshl_b64 s[34:35], s[2:3], 1
	s_waitcnt lgkmcnt(0)
	s_add_u32 s12, s30, s34
	s_addc_u32 s13, s31, s35
	s_bfe_i64 s[2:3], s[0:1], 0x200000
	s_mul_i32 s1, s0, s11
	s_mul_hi_u32 s2, s0, s10
	s_add_i32 s1, s2, s1
	s_mul_i32 s2, s3, s10
	s_add_i32 s1, s1, s2
	s_mul_i32 s0, s0, s10
	s_lshl_b64 s[36:37], s[0:1], 1
	s_add_u32 s2, s12, s36
	s_mul_i32 s0, s16, s9
	s_mul_hi_u32 s1, s16, s8
	s_load_dword s10, s[4:5], 0x48
	s_load_dword s9, s[4:5], 0x5c
	s_addc_u32 s3, s13, s37
	s_add_i32 s0, s1, s0
	s_mul_i32 s7, s7, s8
	s_add_i32 s1, s0, s7
	s_mul_i32 s0, s16, s8
	s_lshl_b64 s[38:39], s[0:1], 1
	s_add_u32 s50, s2, s38
	s_addc_u32 s7, s3, s39
	s_waitcnt lgkmcnt(0)
	s_and_b32 s33, s9, 0xffff
	s_and_b32 s0, s50, 15
	s_mov_b32 s1, 0
	s_cmp_lg_u64 s[0:1], 0
	s_cselect_b64 s[0:1], -1, 0
	s_and_b32 s2, s10, 7
	s_cmp_lg_u32 s2, 0
	s_cselect_b64 s[2:3], -1, 0
	s_or_b64 s[0:1], s[2:3], s[0:1]
	s_and_b64 vcc, exec, s[0:1]
	s_cbranch_vccz .LBB41_20
; %bb.7:
	s_sub_i32 s0, 0, s50
	s_bfe_u32 s0, s0, 0x30001
	s_min_i32 s0, s0, s10
	v_cmp_gt_i32_e32 vcc, s0, v0
	v_mov_b32_e32 v1, 0
	s_and_saveexec_b64 s[2:3], vcc
	s_cbranch_execz .LBB41_11
; %bb.8:
	s_add_u32 s1, s38, s34
	s_addc_u32 s8, s39, s35
	s_add_u32 s1, s1, s36
	s_addc_u32 s8, s8, s37
	s_add_u32 s1, s30, s1
	v_lshlrev_b32_e32 v1, 1, v0
	s_addc_u32 s8, s31, s8
	s_mov_b32 s11, 0
	v_mov_b32_e32 v3, s8
	v_add_co_u32_e32 v2, vcc, s1, v1
	v_addc_co_u32_e32 v3, vcc, 0, v3, vcc
	s_lshl_b32 s1, s33, 1
	s_mov_b64 s[8:9], 0
	v_mov_b32_e32 v1, 0
	v_mov_b32_e32 v4, s11
	;; [unrolled: 1-line block ×3, first 2 shown]
.LBB41_9:                               ; =>This Inner Loop Header: Depth=1
	global_load_ushort v6, v[2:3], off
	v_add_co_u32_e32 v2, vcc, s1, v2
	v_add_u32_e32 v5, s33, v5
	v_addc_co_u32_e32 v3, vcc, v3, v4, vcc
	v_cmp_le_i32_e32 vcc, s0, v5
	s_or_b64 s[8:9], vcc, s[8:9]
	s_waitcnt vmcnt(0)
	v_lshlrev_b32_e32 v6, 16, v6
	v_fmac_f32_e32 v1, v6, v6
	s_andn2_b64 exec, exec, s[8:9]
	s_cbranch_execnz .LBB41_9
; %bb.10:
	s_or_b64 exec, exec, s[8:9]
.LBB41_11:
	s_or_b64 exec, exec, s[2:3]
	s_sub_i32 s11, s10, s0
	s_ashr_i32 s2, s11, 31
	s_lshr_b32 s2, s2, 29
	s_add_i32 s2, s11, s2
	s_ashr_i32 s12, s2, 3
	s_ashr_i32 s1, s0, 31
	v_cmp_gt_i32_e32 vcc, s12, v0
	s_and_saveexec_b64 s[2:3], vcc
	s_cbranch_execz .LBB41_15
; %bb.12:
	s_add_u32 s8, s38, s34
	s_addc_u32 s9, s39, s35
	s_add_u32 s13, s8, s36
	s_addc_u32 s14, s9, s37
	s_lshl_b64 s[8:9], s[0:1], 1
	s_add_u32 s8, s30, s8
	s_addc_u32 s9, s31, s9
	s_add_u32 s8, s8, s13
	v_lshlrev_b32_e32 v2, 4, v0
	s_addc_u32 s9, s9, s14
	s_mov_b32 s15, 0
	v_mov_b32_e32 v3, s9
	v_add_co_u32_e32 v2, vcc, s8, v2
	v_addc_co_u32_e32 v3, vcc, 0, v3, vcc
	s_lshl_b32 s13, s33, 4
	s_mov_b64 s[8:9], 0
	v_mov_b32_e32 v4, s15
	v_mov_b32_e32 v5, v0
.LBB41_13:                              ; =>This Inner Loop Header: Depth=1
	global_load_dwordx4 v[6:9], v[2:3], off
	v_add_co_u32_e32 v2, vcc, s13, v2
	v_add_u32_e32 v5, s33, v5
	v_addc_co_u32_e32 v3, vcc, v3, v4, vcc
	v_cmp_le_i32_e32 vcc, s12, v5
	s_or_b64 s[8:9], vcc, s[8:9]
	s_waitcnt vmcnt(0)
	v_and_b32_e32 v11, 0xffff0000, v6
	v_lshlrev_b32_e32 v10, 16, v6
	v_and_b32_e32 v13, 0xffff0000, v7
	v_lshlrev_b32_e32 v12, 16, v7
	;; [unrolled: 2-line block ×4, first 2 shown]
	v_pk_mul_f32 v[8:9], v[10:11], v[10:11]
	v_add_f32_e32 v1, v1, v8
	v_pk_mul_f32 v[10:11], v[12:13], v[12:13]
	v_add_f32_e32 v1, v1, v9
	v_add_f32_e32 v1, v1, v10
	v_pk_mul_f32 v[6:7], v[6:7], v[6:7]
	v_add_f32_e32 v1, v1, v11
	;; [unrolled: 3-line block ×3, first 2 shown]
	v_add_f32_e32 v1, v1, v12
	v_add_f32_e32 v1, v1, v13
	s_andn2_b64 exec, exec, s[8:9]
	s_cbranch_execnz .LBB41_13
; %bb.14:
	s_or_b64 exec, exec, s[8:9]
.LBB41_15:
	s_or_b64 exec, exec, s[2:3]
	v_lshl_add_u32 v2, s12, 3, v0
	v_cmp_gt_i32_e32 vcc, s11, v2
	s_and_saveexec_b64 s[2:3], vcc
	s_cbranch_execz .LBB41_19
; %bb.16:
	s_add_u32 s8, s38, s34
	s_addc_u32 s9, s39, s35
	s_add_u32 s8, s8, s36
	s_addc_u32 s9, s9, s37
	s_lshl_b64 s[0:1], s[0:1], 1
	s_add_u32 s0, s8, s0
	s_addc_u32 s1, s9, s1
	v_ashrrev_i32_e32 v3, 31, v2
	s_add_u32 s0, s30, s0
	v_lshlrev_b64 v[4:5], 1, v[2:3]
	s_addc_u32 s1, s31, s1
	v_mov_b32_e32 v3, s1
	v_add_co_u32_e32 v4, vcc, s0, v4
	s_mov_b32 s9, 0
	v_addc_co_u32_e32 v5, vcc, v3, v5, vcc
	s_lshl_b32 s8, s33, 1
	s_mov_b64 s[0:1], 0
	v_mov_b32_e32 v3, s9
.LBB41_17:                              ; =>This Inner Loop Header: Depth=1
	global_load_ushort v6, v[4:5], off
	v_add_co_u32_e32 v4, vcc, s8, v4
	v_add_u32_e32 v2, s33, v2
	v_addc_co_u32_e32 v5, vcc, v5, v3, vcc
	v_cmp_le_i32_e32 vcc, s11, v2
	s_or_b64 s[0:1], vcc, s[0:1]
	s_waitcnt vmcnt(0)
	v_lshlrev_b32_e32 v6, 16, v6
	v_fmac_f32_e32 v1, v6, v6
	s_andn2_b64 exec, exec, s[0:1]
	s_cbranch_execnz .LBB41_17
; %bb.18:
	s_or_b64 exec, exec, s[0:1]
.LBB41_19:
	s_or_b64 exec, exec, s[2:3]
	s_branch .LBB41_26
.LBB41_20:
                                        ; implicit-def: $vgpr1
	s_cbranch_execz .LBB41_26
; %bb.21:
	s_ashr_i32 s8, s10, 3
	v_cmp_gt_i32_e32 vcc, s8, v0
	v_mov_b32_e32 v1, 0
	s_and_saveexec_b64 s[0:1], vcc
	s_cbranch_execz .LBB41_25
; %bb.22:
	s_add_u32 s2, s38, s34
	s_addc_u32 s3, s39, s35
	s_add_u32 s2, s2, s36
	s_addc_u32 s3, s3, s37
	s_add_u32 s2, s30, s2
	v_lshlrev_b32_e32 v1, 4, v0
	s_addc_u32 s3, s31, s3
	s_mov_b32 s11, 0
	v_mov_b32_e32 v3, s3
	v_add_co_u32_e32 v2, vcc, s2, v1
	v_addc_co_u32_e32 v3, vcc, 0, v3, vcc
	s_lshl_b32 s9, s33, 4
	s_mov_b64 s[2:3], 0
	v_mov_b32_e32 v1, 0
	v_mov_b32_e32 v4, s11
	;; [unrolled: 1-line block ×3, first 2 shown]
.LBB41_23:                              ; =>This Inner Loop Header: Depth=1
	global_load_dwordx4 v[6:9], v[2:3], off
	v_add_co_u32_e32 v2, vcc, s9, v2
	v_add_u32_e32 v5, s33, v5
	v_addc_co_u32_e32 v3, vcc, v3, v4, vcc
	v_cmp_le_i32_e32 vcc, s8, v5
	s_or_b64 s[2:3], vcc, s[2:3]
	s_waitcnt vmcnt(0)
	v_and_b32_e32 v11, 0xffff0000, v6
	v_lshlrev_b32_e32 v10, 16, v6
	v_and_b32_e32 v13, 0xffff0000, v7
	v_lshlrev_b32_e32 v12, 16, v7
	;; [unrolled: 2-line block ×4, first 2 shown]
	v_pk_mul_f32 v[8:9], v[10:11], v[10:11]
	v_add_f32_e32 v1, v1, v8
	v_pk_mul_f32 v[10:11], v[12:13], v[12:13]
	v_add_f32_e32 v1, v9, v1
	v_add_f32_e32 v1, v10, v1
	v_pk_mul_f32 v[6:7], v[6:7], v[6:7]
	v_add_f32_e32 v1, v11, v1
	;; [unrolled: 3-line block ×3, first 2 shown]
	v_add_f32_e32 v1, v12, v1
	v_add_f32_e32 v1, v13, v1
	s_andn2_b64 exec, exec, s[2:3]
	s_cbranch_execnz .LBB41_23
; %bb.24:
	s_or_b64 exec, exec, s[2:3]
.LBB41_25:
	s_or_b64 exec, exec, s[0:1]
.LBB41_26:
	v_mbcnt_lo_u32_b32 v2, -1, 0
	v_mbcnt_hi_u32_b32 v2, -1, v2
	v_and_b32_e32 v3, 63, v2
	v_cmp_ne_u32_e32 vcc, 63, v3
	v_addc_co_u32_e32 v4, vcc, 0, v2, vcc
	v_lshlrev_b32_e32 v4, 2, v4
	ds_bpermute_b32 v4, v4, v1
	v_and_b32_e32 v5, 0x3c0, v0
	v_sub_u32_e64 v5, s33, v5 clamp
	v_add_u32_e32 v6, 1, v2
	v_cmp_lt_u32_e32 vcc, v6, v5
	s_waitcnt lgkmcnt(0)
	v_add_f32_e32 v4, v1, v4
	v_cndmask_b32_e32 v1, v1, v4, vcc
	v_cmp_gt_u32_e32 vcc, 62, v3
	v_cndmask_b32_e64 v4, 0, 1, vcc
	v_lshlrev_b32_e32 v4, 1, v4
	v_add_lshl_u32 v4, v4, v2, 2
	ds_bpermute_b32 v4, v4, v1
	v_add_u32_e32 v6, 2, v2
	v_cmp_lt_u32_e32 vcc, v6, v5
	v_add_u32_e32 v6, 4, v2
	s_waitcnt lgkmcnt(0)
	v_add_f32_e32 v4, v1, v4
	v_cndmask_b32_e32 v1, v1, v4, vcc
	v_cmp_gt_u32_e32 vcc, 60, v3
	v_cndmask_b32_e64 v4, 0, 1, vcc
	v_lshlrev_b32_e32 v4, 2, v4
	v_add_lshl_u32 v4, v4, v2, 2
	ds_bpermute_b32 v4, v4, v1
	v_cmp_lt_u32_e32 vcc, v6, v5
	v_add_u32_e32 v6, 8, v2
	s_waitcnt lgkmcnt(0)
	v_add_f32_e32 v4, v1, v4
	v_cndmask_b32_e32 v1, v1, v4, vcc
	v_cmp_gt_u32_e32 vcc, 56, v3
	v_cndmask_b32_e64 v4, 0, 1, vcc
	v_lshlrev_b32_e32 v4, 3, v4
	v_add_lshl_u32 v4, v4, v2, 2
	ds_bpermute_b32 v4, v4, v1
	;; [unrolled: 10-line block ×3, first 2 shown]
	v_cmp_lt_u32_e32 vcc, v6, v5
	s_waitcnt lgkmcnt(0)
	v_add_f32_e32 v4, v1, v4
	v_cndmask_b32_e32 v1, v1, v4, vcc
	v_cmp_gt_u32_e32 vcc, 32, v3
	v_cndmask_b32_e64 v3, 0, 1, vcc
	v_lshlrev_b32_e32 v3, 5, v3
	v_add_lshl_u32 v3, v3, v2, 2
	ds_bpermute_b32 v3, v3, v1
	v_add_u32_e32 v4, 32, v2
	v_cmp_lt_u32_e32 vcc, v4, v5
	s_waitcnt lgkmcnt(0)
	v_add_f32_e32 v3, v1, v3
	v_cndmask_b32_e32 v1, v1, v3, vcc
	v_cmp_eq_u32_e32 vcc, 0, v2
	s_and_saveexec_b64 s[0:1], vcc
	s_cbranch_execz .LBB41_28
; %bb.27:
	v_lshrrev_b32_e32 v3, 4, v0
	v_and_b32_e32 v3, 60, v3
	ds_write_b32 v3, v1
.LBB41_28:
	s_or_b64 exec, exec, s[0:1]
	v_cmp_gt_u32_e32 vcc, 16, v0
	s_waitcnt lgkmcnt(0)
	s_barrier
	s_and_saveexec_b64 s[2:3], vcc
	s_cbranch_execz .LBB41_30
; %bb.29:
	v_lshlrev_b32_e32 v1, 2, v2
	ds_read_b32 v1, v1
	v_and_b32_e32 v3, 15, v2
	v_cmp_ne_u32_e32 vcc, 15, v3
	v_addc_co_u32_e32 v4, vcc, 0, v2, vcc
	v_lshlrev_b32_e32 v4, 2, v4
	s_waitcnt lgkmcnt(0)
	ds_bpermute_b32 v4, v4, v1
	s_add_i32 s0, s33, 63
	s_lshr_b32 s8, s0, 6
	v_add_u32_e32 v5, 1, v3
	v_cmp_gt_u32_e64 s[0:1], 14, v3
	v_cmp_gt_u32_e32 vcc, s8, v5
	v_cndmask_b32_e64 v5, 0, 1, s[0:1]
	s_waitcnt lgkmcnt(0)
	v_add_f32_e32 v4, v1, v4
	v_lshlrev_b32_e32 v5, 1, v5
	v_cndmask_b32_e32 v4, v1, v4, vcc
	v_add_lshl_u32 v5, v5, v2, 2
	ds_bpermute_b32 v5, v5, v4
	v_add_u32_e32 v6, 2, v3
	v_cmp_gt_u32_e64 s[0:1], s8, v6
	v_add_u32_e32 v6, 4, v3
	s_waitcnt lgkmcnt(0)
	v_add_f32_e32 v5, v4, v5
	v_cndmask_b32_e64 v4, v4, v5, s[0:1]
	v_cmp_gt_u32_e64 s[0:1], 12, v3
	v_cndmask_b32_e64 v5, 0, 1, s[0:1]
	v_lshlrev_b32_e32 v5, 2, v5
	v_add_lshl_u32 v5, v5, v2, 2
	ds_bpermute_b32 v5, v5, v4
	v_cmp_gt_u32_e64 s[0:1], s8, v6
	s_waitcnt lgkmcnt(0)
	v_add_f32_e32 v5, v4, v5
	v_cndmask_b32_e64 v4, v4, v5, s[0:1]
	v_cmp_gt_u32_e64 s[0:1], 8, v3
	v_cndmask_b32_e64 v5, 0, 1, s[0:1]
	v_lshlrev_b32_e32 v5, 3, v5
	v_add_lshl_u32 v2, v5, v2, 2
	ds_bpermute_b32 v2, v2, v4
	v_add_u32_e32 v3, 8, v3
	v_cmp_gt_u32_e64 s[0:1], s8, v3
	s_waitcnt lgkmcnt(0)
	v_add_f32_e32 v2, v4, v2
	v_cndmask_b32_e64 v2, v4, v2, s[0:1]
	v_cndmask_b32_e32 v1, v1, v2, vcc
.LBB41_30:
	s_or_b64 exec, exec, s[2:3]
	v_cmp_eq_u32_e32 vcc, 0, v0
	s_and_saveexec_b64 s[0:1], vcc
	s_cbranch_execz .LBB41_32
; %bb.31:
	v_cvt_f32_i32_e32 v2, s10
	s_load_dword s8, s[4:5], 0x40
	v_div_scale_f32 v3, s[2:3], v2, v2, v1
	v_rcp_f32_e32 v4, v3
	v_div_scale_f32 v5, vcc, v1, v2, v1
	s_mov_b32 s2, 0x800000
	v_fma_f32 v6, -v3, v4, 1.0
	v_fmac_f32_e32 v4, v6, v4
	v_mul_f32_e32 v6, v5, v4
	v_fma_f32 v7, -v3, v6, v5
	v_fmac_f32_e32 v6, v7, v4
	v_fma_f32 v3, -v3, v6, v5
	v_div_fmas_f32 v3, v3, v4, v6
	v_div_fixup_f32 v1, v3, v2, v1
	s_waitcnt lgkmcnt(0)
	v_add_f32_e32 v1, s8, v1
	v_mul_f32_e32 v2, 0x4b800000, v1
	v_cmp_gt_f32_e32 vcc, s2, v1
	v_cndmask_b32_e32 v1, v1, v2, vcc
	v_rsq_f32_e32 v1, v1
	v_mul_f32_e32 v2, 0x45800000, v1
	v_cndmask_b32_e32 v1, v1, v2, vcc
	v_mov_b32_e32 v2, 0
	ds_write_b32 v2, v1 offset:64
.LBB41_32:
	s_or_b64 exec, exec, s[0:1]
	s_ashr_i32 s0, s10, 31
	s_lshr_b32 s0, s0, 29
	s_add_i32 s0, s10, s0
	s_ashr_i32 s51, s0, 3
	v_cmp_gt_i32_e32 vcc, s51, v0
	s_waitcnt lgkmcnt(0)
	s_barrier
	s_and_saveexec_b64 s[0:1], vcc
	s_cbranch_execz .LBB41_40
; %bb.33:
	v_cvt_f32_u32_e32 v1, s33
	v_add_u32_e32 v3, s33, v0
	v_mov_b32_e32 v6, s33
	v_cmp_gt_i32_e32 vcc, s51, v3
	v_rcp_iflag_f32_e32 v1, v1
	v_max_i32_e32 v4, s51, v3
	v_addc_co_u32_e64 v3, s[0:1], v0, v6, vcc
	v_mul_f32_e32 v1, 0x4f7ffffe, v1
	v_cvt_u32_f32_e32 v1, v1
	s_sub_i32 s0, 0, s33
	v_sub_u32_e32 v3, v4, v3
	v_mov_b32_e32 v5, 0
	v_mul_lo_u32 v4, s0, v1
	v_mul_hi_u32 v4, v1, v4
	v_add_u32_e32 v1, v1, v4
	v_mul_hi_u32 v1, v3, v1
	v_mul_lo_u32 v4, v1, s33
	v_sub_u32_e32 v3, v3, v4
	v_add_u32_e32 v4, 1, v1
	v_cmp_le_u32_e64 s[0:1], s33, v3
	v_cndmask_b32_e64 v1, v1, v4, s[0:1]
	v_subrev_u32_e32 v4, s33, v3
	v_cndmask_b32_e64 v3, v3, v4, s[0:1]
	s_load_dwordx2 s[42:43], s[4:5], 0x0
	s_load_dwordx2 s[40:41], s[4:5], 0x38
	ds_read_b32 v2, v5 offset:64
	v_add_u32_e32 v4, 1, v1
	v_cmp_le_u32_e64 s[0:1], s33, v3
	v_cndmask_b32_e64 v1, v1, v4, s[0:1]
	v_addc_co_u32_e32 v12, vcc, 1, v1, vcc
	s_cmp_eq_u32 s33, 1
	v_cmp_lt_u32_e32 vcc, 1, v12
	s_cselect_b64 s[0:1], -1, 0
	s_mul_i32 s44, s6, s10
	s_mov_b32 s45, 0
	s_and_b64 s[2:3], vcc, s[0:1]
	s_mov_b64 s[0:1], -1
	s_and_saveexec_b64 s[46:47], s[2:3]
	s_cbranch_execz .LBB41_37
; %bb.34:
	s_lshl_b64 s[0:1], s[44:45], 1
	s_waitcnt lgkmcnt(0)
	s_add_u32 s52, s42, s0
	s_addc_u32 s0, s43, s1
	v_and_b32_e32 v13, -2, v12
	v_add_u32_e32 v1, 1, v0
	v_mov_b32_e32 v3, v2
	s_mov_b64 s[48:49], 0
	v_mov_b32_e32 v14, s7
	v_mov_b32_e32 v15, s41
	s_movk_i32 s53, 0x7fff
	v_mov_b32_e32 v16, 0x7fc00000
	v_mov_b32_e32 v17, 0x7fc0
	;; [unrolled: 1-line block ×3, first 2 shown]
	s_mov_b32 s54, 0x5040100
	v_mov_b32_e32 v19, v13
	v_pk_mov_b32 v[6:7], v[0:1], v[0:1] op_sel:[0,1]
.LBB41_35:                              ; =>This Inner Loop Header: Depth=1
	v_mov_b32_e32 v4, v6
	v_add_u32_e32 v19, -2, v19
	v_lshlrev_b64 v[8:9], 4, v[4:5]
	v_mov_b32_e32 v4, v7
	v_cmp_eq_u32_e32 vcc, 0, v19
	v_lshlrev_b64 v[28:29], 4, v[4:5]
	s_or_b64 s[48:49], vcc, s[48:49]
	v_add_co_u32_e32 v36, vcc, s50, v28
	v_add_co_u32_e64 v10, s[0:1], s50, v8
	v_addc_co_u32_e32 v37, vcc, v14, v29, vcc
	v_addc_co_u32_e64 v11, s[0:1], v14, v9, s[0:1]
	v_add_co_u32_e32 v38, vcc, s40, v28
	v_add_co_u32_e64 v30, s[0:1], s40, v8
	v_addc_co_u32_e32 v39, vcc, v15, v29, vcc
	v_addc_co_u32_e64 v31, s[0:1], v15, v9, s[0:1]
	global_load_dwordx4 v[20:23], v[10:11], off
	global_load_dwordx4 v[24:27], v[30:31], off
	v_add_co_u32_e32 v10, vcc, s52, v28
	v_addc_co_u32_e32 v11, vcc, v18, v29, vcc
	global_load_dwordx4 v[28:31], v[36:37], off
	global_load_dwordx4 v[32:35], v[38:39], off
	v_add_co_u32_e64 v8, s[0:1], s52, v8
	v_addc_co_u32_e64 v9, s[0:1], v18, v9, s[0:1]
	v_add_u32_e32 v6, 2, v6
	v_add_u32_e32 v7, 2, v7
	s_waitcnt vmcnt(3)
	v_lshlrev_b32_e32 v36, 16, v20
	v_and_b32_e32 v20, 0xffff0000, v20
	v_lshlrev_b32_e32 v40, 16, v21
	v_and_b32_e32 v44, 0xffff0000, v21
	v_lshlrev_b32_e32 v48, 16, v22
	s_waitcnt vmcnt(1)
	v_and_b32_e32 v21, 0xffff0000, v28
	v_lshlrev_b32_e32 v41, 16, v29
	v_and_b32_e32 v22, 0xffff0000, v22
	v_lshlrev_b32_e32 v52, 16, v23
	;; [unrolled: 2-line block ×5, first 2 shown]
	v_and_b32_e32 v57, 0xffff0000, v31
	v_pk_mul_f32 v[20:21], v[2:3], v[20:21]
	v_pk_mul_f32 v[30:31], v[2:3], v[40:41]
	v_lshlrev_b32_e32 v42, 16, v25
	v_and_b32_e32 v46, 0xffff0000, v25
	v_lshlrev_b32_e32 v54, 16, v27
	v_and_b32_e32 v58, 0xffff0000, v27
	s_waitcnt vmcnt(0)
	v_lshlrev_b32_e32 v39, 16, v32
	v_and_b32_e32 v25, 0xffff0000, v32
	v_lshlrev_b32_e32 v43, 16, v33
	v_and_b32_e32 v47, 0xffff0000, v33
	;; [unrolled: 2-line block ×4, first 2 shown]
	v_pk_mul_f32 v[28:29], v[2:3], v[36:37]
	v_pk_mul_f32 v[32:33], v[2:3], v[44:45]
	;; [unrolled: 1-line block ×6, first 2 shown]
	v_bfe_u32 v44, v20, 16, 1
	v_bfe_u32 v45, v21, 16, 1
	;; [unrolled: 1-line block ×12, first 2 shown]
	v_add3_u32 v45, v21, v45, s53
	v_add3_u32 v44, v20, v44, s53
	v_cmp_o_f32_e32 vcc, v21, v21
	v_cmp_o_f32_e64 s[0:1], v20, v20
	v_bfe_u32 v20, v36, 16, 1
	v_bfe_u32 v21, v37, 16, 1
	v_add3_u32 v49, v31, v49, s53
	v_add3_u32 v48, v30, v48, s53
	v_cmp_o_f32_e64 s[2:3], v31, v31
	v_cmp_o_f32_e64 s[4:5], v30, v30
	v_bfe_u32 v30, v40, 16, 1
	v_bfe_u32 v31, v41, 16, 1
	v_add3_u32 v4, v29, v4, s53
	v_add3_u32 v1, v28, v1, s53
	;; [unrolled: 1-line block ×12, first 2 shown]
	v_and_b32_e32 v44, 0xffff0000, v44
	v_and_b32_e32 v45, 0xffff0000, v45
	;; [unrolled: 1-line block ×6, first 2 shown]
	v_cmp_o_f32_e64 s[6:7], v28, v28
	v_and_b32_e32 v52, 0xffff0000, v52
	v_and_b32_e32 v53, 0xffff0000, v53
	v_cmp_o_f32_e64 s[8:9], v33, v33
	v_cmp_o_f32_e64 s[10:11], v32, v32
	v_and_b32_e32 v32, 0xffff0000, v56
	v_and_b32_e32 v33, 0xffff0000, v57
	v_cmp_o_f32_e64 s[12:13], v35, v35
	;; [unrolled: 4-line block ×5, first 2 shown]
	v_cmp_o_f32_e64 s[26:27], v40, v40
	v_cmp_o_f32_e64 s[28:29], v29, v29
	v_lshlrev_b32_e32 v38, 16, v24
	v_and_b32_e32 v24, 0xffff0000, v24
	v_lshlrev_b32_e32 v50, 16, v26
	v_and_b32_e32 v26, 0xffff0000, v26
	v_cndmask_b32_e64 v21, v16, v4, s[28:29]
	v_cndmask_b32_e64 v20, v16, v1, s[6:7]
	v_cndmask_b32_e32 v23, v16, v45, vcc
	v_cndmask_b32_e64 v22, v16, v44, s[0:1]
	v_cndmask_b32_e64 v29, v16, v49, s[2:3]
	;; [unrolled: 1-line block ×13, first 2 shown]
	v_pk_mul_f32 v[20:21], v[20:21], v[38:39]
	v_pk_mul_f32 v[22:23], v[22:23], v[24:25]
	;; [unrolled: 1-line block ×8, first 2 shown]
	v_bfe_u32 v4, v20, 16, 1
	v_bfe_u32 v36, v23, 16, 1
	;; [unrolled: 1-line block ×16, first 2 shown]
	v_add3_u32 v4, v20, v4, s53
	v_add3_u32 v37, v22, v37, s53
	;; [unrolled: 1-line block ×16, first 2 shown]
	v_lshrrev_b32_e32 v4, 16, v4
	v_cmp_o_f32_e32 vcc, v20, v20
	v_lshrrev_b32_e32 v20, 16, v36
	v_lshrrev_b32_e32 v36, 16, v37
	v_cmp_o_f32_e64 s[0:1], v23, v23
	v_cmp_o_f32_e64 s[2:3], v22, v22
	v_lshrrev_b32_e32 v22, 16, v38
	v_lshrrev_b32_e32 v23, 16, v39
	v_cmp_o_f32_e64 s[4:5], v25, v25
	v_cmp_o_f32_e64 s[6:7], v24, v24
	v_lshrrev_b32_e32 v25, 16, v41
	v_cmp_o_f32_e64 s[8:9], v29, v29
	v_cmp_o_f32_e64 s[10:11], v28, v28
	v_lshrrev_b32_e32 v28, 16, v42
	v_lshrrev_b32_e32 v29, 16, v43
	v_cmp_o_f32_e64 s[12:13], v31, v31
	v_cmp_o_f32_e64 s[14:15], v30, v30
	v_lshrrev_b32_e32 v30, 16, v44
	;; [unrolled: 4-line block ×3, first 2 shown]
	v_cmp_o_f32_e64 s[20:21], v33, v33
	v_cmp_o_f32_e64 s[22:23], v32, v32
	v_lshrrev_b32_e32 v33, 16, v49
	v_cmp_o_f32_e64 s[26:27], v34, v34
	v_lshrrev_b32_e32 v1, 16, v1
	v_lshrrev_b32_e32 v24, 16, v40
	;; [unrolled: 1-line block ×4, first 2 shown]
	v_cmp_o_f32_e64 s[24:25], v35, v35
	v_cmp_o_f32_e64 s[28:29], v21, v21
	v_cndmask_b32_e32 v4, v17, v4, vcc
	v_cndmask_b32_e64 v34, v17, v20, s[0:1]
	v_cndmask_b32_e64 v20, v17, v36, s[2:3]
	;; [unrolled: 1-line block ×15, first 2 shown]
	v_perm_b32 v21, v22, v21, s54
	v_perm_b32 v20, v20, v4, s54
	;; [unrolled: 1-line block ×8, first 2 shown]
	global_store_dwordx4 v[8:9], v[20:23], off
	global_store_dwordx4 v[10:11], v[24:27], off
	s_andn2_b64 exec, exec, s[48:49]
	s_cbranch_execnz .LBB41_35
; %bb.36:
	s_or_b64 exec, exec, s[48:49]
	v_cmp_ne_u32_e32 vcc, v12, v13
	v_add_u32_e32 v0, v0, v13
	s_orn2_b64 s[0:1], vcc, exec
.LBB41_37:
	s_or_b64 exec, exec, s[46:47]
	s_and_b64 exec, exec, s[0:1]
	s_cbranch_execz .LBB41_40
; %bb.38:
	s_lshl_b64 s[0:1], s[44:45], 1
	v_mov_b32_e32 v1, 0
	s_waitcnt lgkmcnt(0)
	s_add_u32 s0, s42, s0
	v_lshlrev_b64 v[4:5], 4, v[0:1]
	s_addc_u32 s1, s43, s1
	s_lshl_b32 s18, s33, 4
	v_add_co_u32_e32 v1, vcc, s0, v4
	s_add_u32 s0, s38, s34
	v_mov_b32_e32 v6, s1
	s_addc_u32 s1, s39, s35
	s_add_u32 s0, s0, s36
	s_addc_u32 s1, s1, s37
	s_add_u32 s0, s30, s0
	v_addc_co_u32_e32 v10, vcc, v6, v5, vcc
	s_addc_u32 s1, s31, s1
	v_mov_b32_e32 v6, s1
	v_add_co_u32_e32 v7, vcc, s0, v4
	v_addc_co_u32_e32 v6, vcc, v6, v5, vcc
	v_add_co_u32_e32 v11, vcc, 8, v7
	v_addc_co_u32_e32 v12, vcc, 0, v6, vcc
	v_mov_b32_e32 v6, s41
	v_add_co_u32_e32 v4, vcc, s40, v4
	v_addc_co_u32_e32 v5, vcc, v5, v6, vcc
	v_add_co_u32_e32 v13, vcc, 8, v4
	v_mov_b32_e32 v3, v2
	v_addc_co_u32_e32 v14, vcc, 0, v5, vcc
	s_mov_b64 s[14:15], 0
	v_mov_b32_e32 v4, v2
	v_mov_b32_e32 v5, v2
	s_movk_i32 s19, 0x7fff
	v_mov_b32_e32 v15, 0x7fc00000
	v_mov_b32_e32 v16, 0x7fc0
	s_mov_b32 s20, 0x5040100
	s_mov_b64 s[16:17], 0
.LBB41_39:                              ; =>This Inner Loop Header: Depth=1
	v_mov_b32_e32 v7, s17
	v_add_co_u32_e64 v26, s[2:3], s16, v11
	v_add_co_u32_e32 v8, vcc, s16, v13
	v_addc_co_u32_e64 v27, s[2:3], v12, v7, s[2:3]
	v_addc_co_u32_e32 v9, vcc, v14, v7, vcc
	global_load_dwordx4 v[18:21], v[26:27], off offset:-8
	global_load_dwordx4 v[22:25], v[8:9], off offset:-8
	v_add_co_u32_e64 v6, s[0:1], s16, v1
	v_add_u32_e32 v0, s33, v0
	s_add_u32 s16, s16, s18
	v_addc_co_u32_e64 v7, vcc, v10, v7, s[0:1]
	s_addc_u32 s17, s17, 0
	v_cmp_le_i32_e32 vcc, s51, v0
	s_or_b64 s[14:15], vcc, s[14:15]
	s_waitcnt vmcnt(1)
	v_and_b32_e32 v9, 0xffff0000, v19
	v_lshlrev_b32_e32 v8, 16, v19
	v_and_b32_e32 v19, 0xffff0000, v18
	v_lshlrev_b32_e32 v18, 16, v18
	;; [unrolled: 2-line block ×4, first 2 shown]
	v_pk_mul_f32 v[18:19], v[2:3], v[18:19]
	v_pk_mul_f32 v[8:9], v[4:5], v[8:9]
	;; [unrolled: 1-line block ×4, first 2 shown]
	v_bfe_u32 v17, v18, 16, 1
	v_bfe_u32 v32, v19, 16, 1
	;; [unrolled: 1-line block ×8, first 2 shown]
	v_add3_u32 v34, v9, v34, s19
	v_add3_u32 v33, v8, v33, s19
	;; [unrolled: 1-line block ×8, first 2 shown]
	v_and_b32_e32 v17, 0xffff0000, v17
	v_and_b32_e32 v32, 0xffff0000, v32
	;; [unrolled: 1-line block ×4, first 2 shown]
	v_cmp_o_f32_e32 vcc, v8, v8
	v_cmp_o_f32_e64 s[0:1], v19, v19
	v_cmp_o_f32_e64 s[2:3], v18, v18
	v_and_b32_e32 v35, 0xffff0000, v35
	v_and_b32_e32 v36, 0xffff0000, v36
	;; [unrolled: 1-line block ×4, first 2 shown]
	v_cmp_o_f32_e64 s[4:5], v29, v29
	v_cmp_o_f32_e64 s[6:7], v28, v28
	;; [unrolled: 1-line block ×5, first 2 shown]
	s_waitcnt vmcnt(0)
	v_and_b32_e32 v27, 0xffff0000, v23
	v_lshlrev_b32_e32 v26, 16, v23
	v_and_b32_e32 v23, 0xffff0000, v22
	v_lshlrev_b32_e32 v22, 16, v22
	;; [unrolled: 2-line block ×4, first 2 shown]
	v_cndmask_b32_e64 v9, v15, v34, s[12:13]
	v_cndmask_b32_e32 v8, v15, v33, vcc
	v_cndmask_b32_e64 v19, v15, v32, s[0:1]
	v_cndmask_b32_e64 v18, v15, v17, s[2:3]
	;; [unrolled: 1-line block ×6, first 2 shown]
	v_pk_mul_f32 v[18:19], v[18:19], v[22:23]
	v_pk_mul_f32 v[8:9], v[8:9], v[26:27]
	;; [unrolled: 1-line block ×4, first 2 shown]
	v_bfe_u32 v17, v18, 16, 1
	v_bfe_u32 v24, v19, 16, 1
	;; [unrolled: 1-line block ×8, first 2 shown]
	v_add3_u32 v26, v9, v26, s19
	v_add3_u32 v25, v8, v25, s19
	;; [unrolled: 1-line block ×8, first 2 shown]
	v_lshrrev_b32_e32 v17, 16, v17
	v_lshrrev_b32_e32 v24, 16, v24
	;; [unrolled: 1-line block ×4, first 2 shown]
	v_cmp_o_f32_e32 vcc, v19, v19
	v_cmp_o_f32_e64 s[0:1], v8, v8
	v_cmp_o_f32_e64 s[2:3], v9, v9
	v_lshrrev_b32_e32 v8, 16, v27
	v_lshrrev_b32_e32 v9, 16, v28
	;; [unrolled: 1-line block ×4, first 2 shown]
	v_cmp_o_f32_e64 s[4:5], v22, v22
	v_cmp_o_f32_e64 s[6:7], v23, v23
	v_cmp_o_f32_e64 s[8:9], v20, v20
	v_cmp_o_f32_e64 s[10:11], v21, v21
	v_cmp_o_f32_e64 s[12:13], v18, v18
	v_cndmask_b32_e64 v17, v16, v17, s[12:13]
	v_cndmask_b32_e32 v18, v16, v24, vcc
	v_cndmask_b32_e64 v22, v16, v25, s[0:1]
	v_cndmask_b32_e64 v23, v16, v26, s[2:3]
	;; [unrolled: 1-line block ×6, first 2 shown]
	v_perm_b32 v21, v20, v19, s20
	v_perm_b32 v20, v9, v8, s20
	;; [unrolled: 1-line block ×4, first 2 shown]
	global_store_dwordx4 v[6:7], v[18:21], off
	s_andn2_b64 exec, exec, s[14:15]
	s_cbranch_execnz .LBB41_39
.LBB41_40:
	s_endpgm
.LBB41_41:
                                        ; implicit-def: $sgpr2_sgpr3
	s_branch .LBB41_2
.LBB41_42:
                                        ; implicit-def: $sgpr0_sgpr1
	s_branch .LBB41_5
	.section	.rodata,"a",@progbits
	.p2align	6, 0x0
	.amdhsa_kernel _ZN4vllm15rms_norm_kernelIN3c108BFloat16ELi8ELi4EEEvPT_PKS3_lllllS6_fii
		.amdhsa_group_segment_fixed_size 68
		.amdhsa_private_segment_fixed_size 0
		.amdhsa_kernarg_size 336
		.amdhsa_user_sgpr_count 6
		.amdhsa_user_sgpr_private_segment_buffer 1
		.amdhsa_user_sgpr_dispatch_ptr 0
		.amdhsa_user_sgpr_queue_ptr 0
		.amdhsa_user_sgpr_kernarg_segment_ptr 1
		.amdhsa_user_sgpr_dispatch_id 0
		.amdhsa_user_sgpr_flat_scratch_init 0
		.amdhsa_user_sgpr_kernarg_preload_length 0
		.amdhsa_user_sgpr_kernarg_preload_offset 0
		.amdhsa_user_sgpr_private_segment_size 0
		.amdhsa_uses_dynamic_stack 0
		.amdhsa_system_sgpr_private_segment_wavefront_offset 0
		.amdhsa_system_sgpr_workgroup_id_x 1
		.amdhsa_system_sgpr_workgroup_id_y 0
		.amdhsa_system_sgpr_workgroup_id_z 0
		.amdhsa_system_sgpr_workgroup_info 0
		.amdhsa_system_vgpr_workitem_id 0
		.amdhsa_next_free_vgpr 62
		.amdhsa_next_free_sgpr 55
		.amdhsa_accum_offset 64
		.amdhsa_reserve_vcc 1
		.amdhsa_reserve_flat_scratch 0
		.amdhsa_float_round_mode_32 0
		.amdhsa_float_round_mode_16_64 0
		.amdhsa_float_denorm_mode_32 3
		.amdhsa_float_denorm_mode_16_64 3
		.amdhsa_dx10_clamp 1
		.amdhsa_ieee_mode 1
		.amdhsa_fp16_overflow 0
		.amdhsa_tg_split 0
		.amdhsa_exception_fp_ieee_invalid_op 0
		.amdhsa_exception_fp_denorm_src 0
		.amdhsa_exception_fp_ieee_div_zero 0
		.amdhsa_exception_fp_ieee_overflow 0
		.amdhsa_exception_fp_ieee_underflow 0
		.amdhsa_exception_fp_ieee_inexact 0
		.amdhsa_exception_int_div_zero 0
	.end_amdhsa_kernel
	.section	.text._ZN4vllm15rms_norm_kernelIN3c108BFloat16ELi8ELi4EEEvPT_PKS3_lllllS6_fii,"axG",@progbits,_ZN4vllm15rms_norm_kernelIN3c108BFloat16ELi8ELi4EEEvPT_PKS3_lllllS6_fii,comdat
.Lfunc_end41:
	.size	_ZN4vllm15rms_norm_kernelIN3c108BFloat16ELi8ELi4EEEvPT_PKS3_lllllS6_fii, .Lfunc_end41-_ZN4vllm15rms_norm_kernelIN3c108BFloat16ELi8ELi4EEEvPT_PKS3_lllllS6_fii
                                        ; -- End function
	.section	.AMDGPU.csdata,"",@progbits
; Kernel info:
; codeLenInByte = 6384
; NumSgprs: 59
; NumVgprs: 62
; NumAgprs: 0
; TotalNumVgprs: 62
; ScratchSize: 0
; MemoryBound: 0
; FloatMode: 240
; IeeeMode: 1
; LDSByteSize: 68 bytes/workgroup (compile time only)
; SGPRBlocks: 7
; VGPRBlocks: 7
; NumSGPRsForWavesPerEU: 59
; NumVGPRsForWavesPerEU: 62
; AccumOffset: 64
; Occupancy: 8
; WaveLimiterHint : 0
; COMPUTE_PGM_RSRC2:SCRATCH_EN: 0
; COMPUTE_PGM_RSRC2:USER_SGPR: 6
; COMPUTE_PGM_RSRC2:TRAP_HANDLER: 0
; COMPUTE_PGM_RSRC2:TGID_X_EN: 1
; COMPUTE_PGM_RSRC2:TGID_Y_EN: 0
; COMPUTE_PGM_RSRC2:TGID_Z_EN: 0
; COMPUTE_PGM_RSRC2:TIDIG_COMP_CNT: 0
; COMPUTE_PGM_RSRC3_GFX90A:ACCUM_OFFSET: 15
; COMPUTE_PGM_RSRC3_GFX90A:TG_SPLIT: 0
	.section	.text._ZN4vllm15rms_norm_kernelIN3c108BFloat16ELi4ELi4EEEvPT_PKS3_lllllS6_fii,"axG",@progbits,_ZN4vllm15rms_norm_kernelIN3c108BFloat16ELi4ELi4EEEvPT_PKS3_lllllS6_fii,comdat
	.protected	_ZN4vllm15rms_norm_kernelIN3c108BFloat16ELi4ELi4EEEvPT_PKS3_lllllS6_fii ; -- Begin function _ZN4vllm15rms_norm_kernelIN3c108BFloat16ELi4ELi4EEEvPT_PKS3_lllllS6_fii
	.globl	_ZN4vllm15rms_norm_kernelIN3c108BFloat16ELi4ELi4EEEvPT_PKS3_lllllS6_fii
	.p2align	8
	.type	_ZN4vllm15rms_norm_kernelIN3c108BFloat16ELi4ELi4EEEvPT_PKS3_lllllS6_fii,@function
_ZN4vllm15rms_norm_kernelIN3c108BFloat16ELi4ELi4EEEvPT_PKS3_lllllS6_fii: ; @_ZN4vllm15rms_norm_kernelIN3c108BFloat16ELi4ELi4EEEvPT_PKS3_lllllS6_fii
; %bb.0:
	s_load_dwordx8 s[8:15], s[4:5], 0x10
	s_load_dwordx2 s[2:3], s[4:5], 0x30
	s_mov_b32 s0, 0
	s_waitcnt lgkmcnt(0)
	s_mul_i32 s1, s2, s15
	s_mul_hi_u32 s7, s2, s14
	s_add_i32 s1, s7, s1
	s_mul_i32 s3, s3, s14
	s_add_i32 s1, s1, s3
	s_cmp_lg_u64 s[0:1], 0
	s_mul_i32 s7, s2, s14
	s_cbranch_scc0 .LBB42_36
; %bb.1:
	s_ashr_i32 s2, s1, 31
	s_add_u32 s0, s7, s2
	s_mov_b32 s3, s2
	s_addc_u32 s1, s1, s2
	s_xor_b64 s[16:17], s[0:1], s[2:3]
	v_cvt_f32_u32_e32 v1, s16
	v_cvt_f32_u32_e32 v2, s17
	s_sub_u32 s0, 0, s16
	s_subb_u32 s1, 0, s17
	v_madmk_f32 v1, v2, 0x4f800000, v1
	v_rcp_f32_e32 v1, v1
	v_mul_f32_e32 v1, 0x5f7ffffc, v1
	v_mul_f32_e32 v2, 0x2f800000, v1
	v_trunc_f32_e32 v2, v2
	v_madmk_f32 v1, v2, 0xcf800000, v1
	v_cvt_u32_f32_e32 v2, v2
	v_cvt_u32_f32_e32 v1, v1
	v_readfirstlane_b32 s20, v2
	v_readfirstlane_b32 s21, v1
	s_mul_i32 s22, s0, s20
	s_mul_hi_u32 s24, s0, s21
	s_mul_i32 s23, s1, s21
	s_add_i32 s22, s24, s22
	s_add_i32 s22, s22, s23
	s_mul_i32 s25, s0, s21
	s_mul_hi_u32 s23, s21, s22
	s_mul_i32 s24, s21, s22
	s_mul_hi_u32 s21, s21, s25
	s_add_u32 s21, s21, s24
	s_addc_u32 s23, 0, s23
	s_mul_hi_u32 s26, s20, s25
	s_mul_i32 s25, s20, s25
	s_add_u32 s21, s21, s25
	s_mul_hi_u32 s24, s20, s22
	s_addc_u32 s21, s23, s26
	s_addc_u32 s23, s24, 0
	s_mul_i32 s22, s20, s22
	s_add_u32 s21, s21, s22
	s_addc_u32 s22, 0, s23
	v_add_co_u32_e32 v1, vcc, s21, v1
	s_cmp_lg_u64 vcc, 0
	s_addc_u32 s20, s20, s22
	v_readfirstlane_b32 s22, v1
	s_mul_i32 s21, s0, s20
	s_mul_hi_u32 s23, s0, s22
	s_add_i32 s21, s23, s21
	s_mul_i32 s1, s1, s22
	s_add_i32 s21, s21, s1
	s_mul_i32 s0, s0, s22
	s_mul_hi_u32 s23, s20, s0
	s_mul_i32 s24, s20, s0
	s_mul_i32 s26, s22, s21
	s_mul_hi_u32 s0, s22, s0
	s_mul_hi_u32 s25, s22, s21
	s_add_u32 s0, s0, s26
	s_addc_u32 s22, 0, s25
	s_add_u32 s0, s0, s24
	s_mul_hi_u32 s1, s20, s21
	s_addc_u32 s0, s22, s23
	s_addc_u32 s1, s1, 0
	s_mul_i32 s21, s20, s21
	s_add_u32 s0, s0, s21
	s_addc_u32 s1, 0, s1
	v_add_co_u32_e32 v1, vcc, s0, v1
	s_cmp_lg_u64 vcc, 0
	s_addc_u32 s0, s20, s1
	v_readfirstlane_b32 s20, v1
	s_mul_hi_u32 s1, s6, s0
	s_mul_i32 s0, s6, s0
	s_mul_hi_u32 s20, s6, s20
	s_add_u32 s0, s20, s0
	s_addc_u32 s1, 0, s1
	s_add_u32 s0, s0, 0
	s_addc_u32 s0, s1, 0
	s_addc_u32 s1, 0, 0
	s_add_u32 s20, s0, 0
	s_addc_u32 s21, 0, s1
	s_mul_i32 s0, s16, s21
	s_mul_hi_u32 s1, s16, s20
	s_add_i32 s0, s1, s0
	s_mul_i32 s1, s17, s20
	s_add_i32 s22, s0, s1
	s_mul_i32 s1, s16, s20
	v_mov_b32_e32 v1, s1
	s_sub_i32 s0, 0, s22
	v_sub_co_u32_e32 v1, vcc, s6, v1
	s_cmp_lg_u64 vcc, 0
	s_subb_u32 s23, s0, s17
	v_subrev_co_u32_e64 v2, s[0:1], s16, v1
	s_cmp_lg_u64 s[0:1], 0
	s_subb_u32 s0, s23, 0
	s_cmp_ge_u32 s0, s17
	v_readfirstlane_b32 s23, v2
	s_cselect_b32 s1, -1, 0
	s_cmp_ge_u32 s23, s16
	s_cselect_b32 s23, -1, 0
	s_cmp_eq_u32 s0, s17
	s_cselect_b32 s0, s23, s1
	s_add_u32 s1, s20, 1
	s_addc_u32 s23, s21, 0
	s_add_u32 s24, s20, 2
	s_addc_u32 s25, s21, 0
	s_cmp_lg_u32 s0, 0
	s_cselect_b32 s0, s24, s1
	s_cselect_b32 s1, s25, s23
	s_cmp_lg_u64 vcc, 0
	s_subb_u32 s22, 0, s22
	s_cmp_ge_u32 s22, s17
	v_readfirstlane_b32 s24, v1
	s_cselect_b32 s23, -1, 0
	s_cmp_ge_u32 s24, s16
	s_cselect_b32 s16, -1, 0
	s_cmp_eq_u32 s22, s17
	s_cselect_b32 s16, s16, s23
	s_cmp_lg_u32 s16, 0
	s_cselect_b32 s1, s1, s21
	s_cselect_b32 s0, s0, s20
	s_xor_b64 s[0:1], s[0:1], s[2:3]
	s_sub_u32 s16, s0, s2
	s_subb_u32 s17, s1, s2
	s_cbranch_execnz .LBB42_3
.LBB42_2:
	v_cvt_f32_u32_e32 v1, s7
	s_sub_i32 s0, 0, s7
	s_mov_b32 s17, 0
	v_rcp_iflag_f32_e32 v1, v1
	v_mul_f32_e32 v1, 0x4f7ffffe, v1
	v_cvt_u32_f32_e32 v1, v1
	v_readfirstlane_b32 s1, v1
	s_mul_i32 s0, s0, s1
	s_mul_hi_u32 s0, s1, s0
	s_add_i32 s1, s1, s0
	s_mul_hi_u32 s0, s6, s1
	s_mul_i32 s2, s0, s7
	s_sub_i32 s2, s6, s2
	s_add_i32 s1, s0, 1
	s_sub_i32 s3, s2, s7
	s_cmp_ge_u32 s2, s7
	s_cselect_b32 s0, s1, s0
	s_cselect_b32 s2, s3, s2
	s_add_i32 s1, s0, 1
	s_cmp_ge_u32 s2, s7
	s_cselect_b32 s16, s1, s0
.LBB42_3:
	s_mul_i32 s0, s16, s7
	s_load_dwordx2 s[2:3], s[4:5], 0x8
	s_sub_i32 s18, s6, s0
	s_ashr_i32 s19, s18, 31
	s_or_b64 s[0:1], s[18:19], s[14:15]
	s_mov_b32 s0, 0
	s_cmp_lg_u64 s[0:1], 0
	s_cbranch_scc0 .LBB42_37
; %bb.4:
	s_ashr_i32 s20, s15, 31
	s_add_u32 s0, s14, s20
	s_mov_b32 s21, s20
	s_addc_u32 s1, s15, s20
	s_xor_b64 s[24:25], s[0:1], s[20:21]
	v_cvt_f32_u32_e32 v1, s24
	v_cvt_f32_u32_e32 v2, s25
	s_sub_u32 s0, 0, s24
	s_subb_u32 s1, 0, s25
	v_madmk_f32 v1, v2, 0x4f800000, v1
	v_rcp_f32_e32 v1, v1
	v_mul_f32_e32 v1, 0x5f7ffffc, v1
	v_mul_f32_e32 v2, 0x2f800000, v1
	v_trunc_f32_e32 v2, v2
	v_madmk_f32 v1, v2, 0xcf800000, v1
	v_cvt_u32_f32_e32 v2, v2
	v_cvt_u32_f32_e32 v1, v1
	v_readfirstlane_b32 s7, v2
	v_readfirstlane_b32 s26, v1
	s_mul_i32 s27, s0, s7
	s_mul_hi_u32 s29, s0, s26
	s_mul_i32 s28, s1, s26
	s_add_i32 s27, s29, s27
	s_add_i32 s27, s27, s28
	s_mul_i32 s30, s0, s26
	s_mul_hi_u32 s28, s26, s27
	s_mul_i32 s29, s26, s27
	s_mul_hi_u32 s26, s26, s30
	s_add_u32 s26, s26, s29
	s_addc_u32 s28, 0, s28
	s_mul_hi_u32 s31, s7, s30
	s_mul_i32 s30, s7, s30
	s_add_u32 s26, s26, s30
	s_mul_hi_u32 s29, s7, s27
	s_addc_u32 s26, s28, s31
	s_addc_u32 s28, s29, 0
	s_mul_i32 s27, s7, s27
	s_add_u32 s26, s26, s27
	s_addc_u32 s27, 0, s28
	v_add_co_u32_e32 v1, vcc, s26, v1
	s_cmp_lg_u64 vcc, 0
	s_addc_u32 s7, s7, s27
	v_readfirstlane_b32 s27, v1
	s_mul_i32 s26, s0, s7
	s_mul_hi_u32 s28, s0, s27
	s_add_i32 s26, s28, s26
	s_mul_i32 s1, s1, s27
	s_add_i32 s26, s26, s1
	s_mul_i32 s0, s0, s27
	s_mul_hi_u32 s28, s7, s0
	s_mul_i32 s29, s7, s0
	s_mul_i32 s31, s27, s26
	s_mul_hi_u32 s0, s27, s0
	s_mul_hi_u32 s30, s27, s26
	s_add_u32 s0, s0, s31
	s_addc_u32 s27, 0, s30
	s_add_u32 s0, s0, s29
	s_mul_hi_u32 s1, s7, s26
	s_addc_u32 s0, s27, s28
	s_addc_u32 s1, s1, 0
	s_mul_i32 s26, s7, s26
	s_add_u32 s0, s0, s26
	s_addc_u32 s1, 0, s1
	v_add_co_u32_e32 v1, vcc, s0, v1
	s_cmp_lg_u64 vcc, 0
	s_addc_u32 s7, s7, s1
	s_add_u32 s0, s18, s19
	s_mov_b32 s26, s19
	s_mov_b32 s27, s19
	s_addc_u32 s1, s19, s19
	s_xor_b64 s[28:29], s[0:1], s[26:27]
	v_readfirstlane_b32 s30, v1
	s_mul_i32 s1, s28, s7
	s_mul_hi_u32 s31, s28, s30
	s_mul_hi_u32 s0, s28, s7
	s_add_u32 s1, s31, s1
	s_addc_u32 s0, 0, s0
	s_mul_hi_u32 s33, s29, s30
	s_mul_i32 s30, s29, s30
	s_add_u32 s1, s1, s30
	s_mul_hi_u32 s31, s29, s7
	s_addc_u32 s0, s0, s33
	s_addc_u32 s1, s31, 0
	s_mul_i32 s7, s29, s7
	s_add_u32 s7, s0, s7
	s_addc_u32 s30, 0, s1
	s_mul_i32 s0, s24, s30
	s_mul_hi_u32 s1, s24, s7
	s_add_i32 s0, s1, s0
	s_mul_i32 s1, s25, s7
	s_add_i32 s31, s0, s1
	s_mul_i32 s1, s24, s7
	v_mov_b32_e32 v1, s1
	s_sub_i32 s0, s29, s31
	v_sub_co_u32_e32 v1, vcc, s28, v1
	s_cmp_lg_u64 vcc, 0
	s_subb_u32 s28, s0, s25
	v_subrev_co_u32_e64 v2, s[0:1], s24, v1
	s_cmp_lg_u64 s[0:1], 0
	s_subb_u32 s0, s28, 0
	s_cmp_ge_u32 s0, s25
	v_readfirstlane_b32 s28, v2
	s_cselect_b32 s1, -1, 0
	s_cmp_ge_u32 s28, s24
	s_cselect_b32 s28, -1, 0
	s_cmp_eq_u32 s0, s25
	s_cselect_b32 s0, s28, s1
	s_add_u32 s1, s7, 1
	s_addc_u32 s28, s30, 0
	s_add_u32 s33, s7, 2
	s_addc_u32 s34, s30, 0
	s_cmp_lg_u32 s0, 0
	s_cselect_b32 s0, s33, s1
	s_cselect_b32 s1, s34, s28
	s_cmp_lg_u64 vcc, 0
	s_subb_u32 s28, s29, s31
	s_cmp_ge_u32 s28, s25
	v_readfirstlane_b32 s31, v1
	s_cselect_b32 s29, -1, 0
	s_cmp_ge_u32 s31, s24
	s_cselect_b32 s24, -1, 0
	s_cmp_eq_u32 s28, s25
	s_cselect_b32 s24, s24, s29
	s_cmp_lg_u32 s24, 0
	s_cselect_b32 s1, s1, s30
	s_cselect_b32 s0, s0, s7
	s_xor_b64 s[20:21], s[26:27], s[20:21]
	s_xor_b64 s[0:1], s[0:1], s[20:21]
	s_sub_u32 s0, s0, s20
	s_subb_u32 s1, s1, s21
	s_cbranch_execnz .LBB42_6
.LBB42_5:
	v_cvt_f32_u32_e32 v1, s14
	s_sub_i32 s0, 0, s14
	s_mov_b32 s1, 0
	v_rcp_iflag_f32_e32 v1, v1
	v_mul_f32_e32 v1, 0x4f7ffffe, v1
	v_cvt_u32_f32_e32 v1, v1
	v_readfirstlane_b32 s7, v1
	s_mul_i32 s0, s0, s7
	s_mul_hi_u32 s0, s7, s0
	s_add_i32 s7, s7, s0
	s_mul_hi_u32 s0, s18, s7
	s_mul_i32 s20, s0, s14
	s_sub_i32 s20, s18, s20
	s_add_i32 s7, s0, 1
	s_sub_i32 s21, s20, s14
	s_cmp_ge_u32 s20, s14
	s_cselect_b32 s0, s7, s0
	s_cselect_b32 s20, s21, s20
	s_add_i32 s7, s0, 1
	s_cmp_ge_u32 s20, s14
	s_cselect_b32 s0, s7, s0
.LBB42_6:
	s_mul_i32 s7, s0, s15
	s_mul_hi_u32 s15, s0, s14
	s_add_i32 s7, s15, s7
	s_mul_i32 s15, s1, s14
	s_add_i32 s7, s7, s15
	s_mul_i32 s14, s0, s14
	s_sub_u32 s20, s18, s14
	s_subb_u32 s7, s19, s7
	s_bfe_i64 s[14:15], s[16:17], 0x200000
	s_mul_i32 s13, s16, s13
	s_mul_hi_u32 s14, s16, s12
	s_add_i32 s13, s14, s13
	s_mul_i32 s14, s15, s12
	s_add_i32 s13, s13, s14
	s_bfe_i64 s[14:15], s[0:1], 0x200000
	s_mul_i32 s1, s0, s11
	s_mul_hi_u32 s11, s0, s10
	s_add_i32 s1, s11, s1
	s_mul_i32 s11, s15, s10
	s_add_i32 s1, s1, s11
	s_mul_i32 s0, s0, s10
	s_mul_i32 s12, s16, s12
	s_lshl_b64 s[10:11], s[0:1], 1
	s_mul_i32 s0, s20, s9
	s_mul_hi_u32 s1, s20, s8
	s_load_dword s18, s[4:5], 0x48
	s_load_dword s15, s[4:5], 0x5c
	s_lshl_b64 s[12:13], s[12:13], 1
	s_add_i32 s0, s1, s0
	s_mul_i32 s7, s7, s8
	s_waitcnt lgkmcnt(0)
	s_add_u32 s16, s2, s12
	s_add_i32 s1, s0, s7
	s_mul_i32 s0, s20, s8
	s_add_u32 s14, s16, s10
	s_lshl_b64 s[8:9], s[0:1], 1
	s_add_u32 s0, s14, s8
	s_and_b32 s7, s15, 0xffff
	s_and_b32 s14, s0, 7
	s_mov_b32 s15, 0
	s_cmp_lg_u64 s[14:15], 0
	s_cselect_b64 s[14:15], -1, 0
	s_and_b32 s1, s18, 3
	s_cmp_lg_u32 s1, 0
	s_cselect_b64 s[16:17], -1, 0
	s_or_b64 s[14:15], s[16:17], s[14:15]
	s_and_b64 vcc, exec, s[14:15]
	s_cbranch_vccz .LBB42_20
; %bb.7:
	s_sub_i32 s0, 0, s0
	s_bfe_u32 s0, s0, 0x20001
	s_min_i32 s0, s0, s18
	v_cmp_gt_i32_e32 vcc, s0, v0
	v_mov_b32_e32 v1, 0
	s_and_saveexec_b64 s[14:15], vcc
	s_cbranch_execz .LBB42_11
; %bb.8:
	s_add_u32 s1, s8, s12
	s_addc_u32 s16, s9, s13
	s_add_u32 s1, s1, s10
	s_addc_u32 s16, s16, s11
	s_add_u32 s1, s2, s1
	v_lshlrev_b32_e32 v1, 1, v0
	s_addc_u32 s16, s3, s16
	s_mov_b32 s19, 0
	v_mov_b32_e32 v3, s16
	v_add_co_u32_e32 v2, vcc, s1, v1
	v_addc_co_u32_e32 v3, vcc, 0, v3, vcc
	s_lshl_b32 s1, s7, 1
	s_mov_b64 s[16:17], 0
	v_mov_b32_e32 v1, 0
	v_mov_b32_e32 v4, s19
	;; [unrolled: 1-line block ×3, first 2 shown]
.LBB42_9:                               ; =>This Inner Loop Header: Depth=1
	global_load_ushort v6, v[2:3], off
	v_add_co_u32_e32 v2, vcc, s1, v2
	v_add_u32_e32 v5, s7, v5
	v_addc_co_u32_e32 v3, vcc, v3, v4, vcc
	v_cmp_le_i32_e32 vcc, s0, v5
	s_or_b64 s[16:17], vcc, s[16:17]
	s_waitcnt vmcnt(0)
	v_lshlrev_b32_e32 v6, 16, v6
	v_fmac_f32_e32 v1, v6, v6
	s_andn2_b64 exec, exec, s[16:17]
	s_cbranch_execnz .LBB42_9
; %bb.10:
	s_or_b64 exec, exec, s[16:17]
.LBB42_11:
	s_or_b64 exec, exec, s[14:15]
	s_sub_i32 s19, s18, s0
	s_ashr_i32 s14, s19, 31
	s_lshr_b32 s14, s14, 30
	s_add_i32 s14, s19, s14
	s_ashr_i32 s20, s14, 2
	s_ashr_i32 s1, s0, 31
	v_cmp_gt_i32_e32 vcc, s20, v0
	s_and_saveexec_b64 s[14:15], vcc
	s_cbranch_execz .LBB42_15
; %bb.12:
	s_add_u32 s16, s8, s12
	s_addc_u32 s17, s9, s13
	s_add_u32 s21, s16, s10
	s_addc_u32 s22, s17, s11
	s_lshl_b64 s[16:17], s[0:1], 1
	s_add_u32 s16, s2, s16
	s_addc_u32 s17, s3, s17
	s_add_u32 s16, s16, s21
	v_lshlrev_b32_e32 v2, 3, v0
	s_addc_u32 s17, s17, s22
	v_mov_b32_e32 v3, s17
	v_add_co_u32_e32 v2, vcc, s16, v2
	v_addc_co_u32_e32 v3, vcc, 0, v3, vcc
	s_mov_b32 s23, 0
	v_add_co_u32_e32 v2, vcc, 4, v2
	v_addc_co_u32_e32 v3, vcc, 0, v3, vcc
	s_lshl_b32 s21, s7, 3
	s_mov_b64 s[16:17], 0
	v_mov_b32_e32 v4, s23
	v_mov_b32_e32 v5, v0
.LBB42_13:                              ; =>This Inner Loop Header: Depth=1
	global_load_dwordx2 v[6:7], v[2:3], off offset:-4
	v_add_co_u32_e32 v2, vcc, s21, v2
	v_add_u32_e32 v5, s7, v5
	v_addc_co_u32_e32 v3, vcc, v3, v4, vcc
	v_cmp_le_i32_e32 vcc, s20, v5
	s_or_b64 s[16:17], vcc, s[16:17]
	s_waitcnt vmcnt(0)
	v_and_b32_e32 v9, 0xffff0000, v6
	v_lshlrev_b32_e32 v8, 16, v6
	v_and_b32_e32 v11, 0xffff0000, v7
	v_lshlrev_b32_e32 v10, 16, v7
	v_pk_mul_f32 v[6:7], v[8:9], v[8:9]
	v_add_f32_e32 v1, v1, v6
	v_pk_mul_f32 v[8:9], v[10:11], v[10:11]
	v_add_f32_e32 v1, v1, v7
	v_add_f32_e32 v1, v1, v8
	;; [unrolled: 1-line block ×3, first 2 shown]
	s_andn2_b64 exec, exec, s[16:17]
	s_cbranch_execnz .LBB42_13
; %bb.14:
	s_or_b64 exec, exec, s[16:17]
.LBB42_15:
	s_or_b64 exec, exec, s[14:15]
	v_lshl_add_u32 v2, s20, 2, v0
	v_cmp_gt_i32_e32 vcc, s19, v2
	s_and_saveexec_b64 s[14:15], vcc
	s_cbranch_execz .LBB42_19
; %bb.16:
	s_add_u32 s16, s8, s12
	s_addc_u32 s17, s9, s13
	s_add_u32 s16, s16, s10
	s_addc_u32 s17, s17, s11
	s_lshl_b64 s[0:1], s[0:1], 1
	s_add_u32 s0, s16, s0
	s_addc_u32 s1, s17, s1
	v_ashrrev_i32_e32 v3, 31, v2
	s_add_u32 s0, s2, s0
	v_lshlrev_b64 v[4:5], 1, v[2:3]
	s_addc_u32 s1, s3, s1
	v_mov_b32_e32 v3, s1
	v_add_co_u32_e32 v4, vcc, s0, v4
	s_mov_b32 s17, 0
	v_addc_co_u32_e32 v5, vcc, v3, v5, vcc
	s_lshl_b32 s16, s7, 1
	s_mov_b64 s[0:1], 0
	v_mov_b32_e32 v3, s17
.LBB42_17:                              ; =>This Inner Loop Header: Depth=1
	global_load_ushort v6, v[4:5], off
	v_add_co_u32_e32 v4, vcc, s16, v4
	v_add_u32_e32 v2, s7, v2
	v_addc_co_u32_e32 v5, vcc, v5, v3, vcc
	v_cmp_le_i32_e32 vcc, s19, v2
	s_or_b64 s[0:1], vcc, s[0:1]
	s_waitcnt vmcnt(0)
	v_lshlrev_b32_e32 v6, 16, v6
	v_fmac_f32_e32 v1, v6, v6
	s_andn2_b64 exec, exec, s[0:1]
	s_cbranch_execnz .LBB42_17
; %bb.18:
	s_or_b64 exec, exec, s[0:1]
.LBB42_19:
	s_or_b64 exec, exec, s[14:15]
	s_branch .LBB42_26
.LBB42_20:
                                        ; implicit-def: $vgpr1
	s_cbranch_execz .LBB42_26
; %bb.21:
	s_ashr_i32 s16, s18, 2
	v_cmp_gt_i32_e32 vcc, s16, v0
	v_mov_b32_e32 v1, 0
	s_and_saveexec_b64 s[0:1], vcc
	s_cbranch_execz .LBB42_25
; %bb.22:
	s_add_u32 s14, s8, s12
	s_addc_u32 s15, s9, s13
	s_add_u32 s14, s14, s10
	s_addc_u32 s15, s15, s11
	s_add_u32 s14, s2, s14
	v_lshlrev_b32_e32 v1, 3, v0
	s_addc_u32 s15, s3, s15
	s_mov_b32 s19, 0
	v_mov_b32_e32 v3, s15
	v_add_co_u32_e32 v2, vcc, s14, v1
	v_addc_co_u32_e32 v3, vcc, 0, v3, vcc
	s_lshl_b32 s17, s7, 3
	s_mov_b64 s[14:15], 0
	v_mov_b32_e32 v1, 0
	v_mov_b32_e32 v4, s19
	;; [unrolled: 1-line block ×3, first 2 shown]
.LBB42_23:                              ; =>This Inner Loop Header: Depth=1
	global_load_dwordx2 v[6:7], v[2:3], off
	v_add_co_u32_e32 v2, vcc, s17, v2
	v_add_u32_e32 v5, s7, v5
	v_addc_co_u32_e32 v3, vcc, v3, v4, vcc
	v_cmp_le_i32_e32 vcc, s16, v5
	s_or_b64 s[14:15], vcc, s[14:15]
	s_waitcnt vmcnt(0)
	v_lshlrev_b32_e32 v9, 16, v6
	v_and_b32_e32 v8, 0xffff0000, v6
	v_alignbit_b32 v6, v7, v6, 16
	v_fmac_f32_e32 v1, v9, v9
	v_and_b32_e32 v6, 0xffff0000, v6
	v_fmac_f32_e32 v1, v8, v8
	v_and_b32_e32 v7, 0xffff0000, v7
	v_fmac_f32_e32 v1, v6, v6
	v_fmac_f32_e32 v1, v7, v7
	s_andn2_b64 exec, exec, s[14:15]
	s_cbranch_execnz .LBB42_23
; %bb.24:
	s_or_b64 exec, exec, s[14:15]
.LBB42_25:
	s_or_b64 exec, exec, s[0:1]
.LBB42_26:
	v_mbcnt_lo_u32_b32 v2, -1, 0
	v_mbcnt_hi_u32_b32 v2, -1, v2
	v_and_b32_e32 v3, 63, v2
	v_cmp_ne_u32_e32 vcc, 63, v3
	v_addc_co_u32_e32 v4, vcc, 0, v2, vcc
	v_lshlrev_b32_e32 v4, 2, v4
	ds_bpermute_b32 v4, v4, v1
	v_and_b32_e32 v5, 0x3c0, v0
	v_sub_u32_e64 v5, s7, v5 clamp
	v_add_u32_e32 v6, 1, v2
	v_cmp_lt_u32_e32 vcc, v6, v5
	s_waitcnt lgkmcnt(0)
	v_add_f32_e32 v4, v1, v4
	v_cndmask_b32_e32 v1, v1, v4, vcc
	v_cmp_gt_u32_e32 vcc, 62, v3
	v_cndmask_b32_e64 v4, 0, 1, vcc
	v_lshlrev_b32_e32 v4, 1, v4
	v_add_lshl_u32 v4, v4, v2, 2
	ds_bpermute_b32 v4, v4, v1
	v_add_u32_e32 v6, 2, v2
	v_cmp_lt_u32_e32 vcc, v6, v5
	v_add_u32_e32 v6, 4, v2
	s_waitcnt lgkmcnt(0)
	v_add_f32_e32 v4, v1, v4
	v_cndmask_b32_e32 v1, v1, v4, vcc
	v_cmp_gt_u32_e32 vcc, 60, v3
	v_cndmask_b32_e64 v4, 0, 1, vcc
	v_lshlrev_b32_e32 v4, 2, v4
	v_add_lshl_u32 v4, v4, v2, 2
	ds_bpermute_b32 v4, v4, v1
	v_cmp_lt_u32_e32 vcc, v6, v5
	v_add_u32_e32 v6, 8, v2
	s_waitcnt lgkmcnt(0)
	v_add_f32_e32 v4, v1, v4
	v_cndmask_b32_e32 v1, v1, v4, vcc
	v_cmp_gt_u32_e32 vcc, 56, v3
	v_cndmask_b32_e64 v4, 0, 1, vcc
	v_lshlrev_b32_e32 v4, 3, v4
	v_add_lshl_u32 v4, v4, v2, 2
	ds_bpermute_b32 v4, v4, v1
	;; [unrolled: 10-line block ×3, first 2 shown]
	v_cmp_lt_u32_e32 vcc, v6, v5
	s_waitcnt lgkmcnt(0)
	v_add_f32_e32 v4, v1, v4
	v_cndmask_b32_e32 v1, v1, v4, vcc
	v_cmp_gt_u32_e32 vcc, 32, v3
	v_cndmask_b32_e64 v3, 0, 1, vcc
	v_lshlrev_b32_e32 v3, 5, v3
	v_add_lshl_u32 v3, v3, v2, 2
	ds_bpermute_b32 v3, v3, v1
	v_add_u32_e32 v4, 32, v2
	v_cmp_lt_u32_e32 vcc, v4, v5
	s_waitcnt lgkmcnt(0)
	v_add_f32_e32 v3, v1, v3
	v_cndmask_b32_e32 v1, v1, v3, vcc
	v_cmp_eq_u32_e32 vcc, 0, v2
	s_and_saveexec_b64 s[0:1], vcc
	s_cbranch_execz .LBB42_28
; %bb.27:
	v_lshrrev_b32_e32 v3, 4, v0
	v_and_b32_e32 v3, 60, v3
	ds_write_b32 v3, v1
.LBB42_28:
	s_or_b64 exec, exec, s[0:1]
	v_cmp_gt_u32_e32 vcc, 16, v0
	s_waitcnt lgkmcnt(0)
	s_barrier
	s_and_saveexec_b64 s[14:15], vcc
	s_cbranch_execz .LBB42_30
; %bb.29:
	v_lshlrev_b32_e32 v1, 2, v2
	ds_read_b32 v1, v1
	v_and_b32_e32 v3, 15, v2
	v_cmp_ne_u32_e32 vcc, 15, v3
	v_addc_co_u32_e32 v4, vcc, 0, v2, vcc
	v_lshlrev_b32_e32 v4, 2, v4
	s_waitcnt lgkmcnt(0)
	ds_bpermute_b32 v4, v4, v1
	s_add_i32 s0, s7, 63
	s_lshr_b32 s16, s0, 6
	v_add_u32_e32 v5, 1, v3
	v_cmp_gt_u32_e64 s[0:1], 14, v3
	v_cmp_gt_u32_e32 vcc, s16, v5
	v_cndmask_b32_e64 v5, 0, 1, s[0:1]
	s_waitcnt lgkmcnt(0)
	v_add_f32_e32 v4, v1, v4
	v_lshlrev_b32_e32 v5, 1, v5
	v_cndmask_b32_e32 v4, v1, v4, vcc
	v_add_lshl_u32 v5, v5, v2, 2
	ds_bpermute_b32 v5, v5, v4
	v_add_u32_e32 v6, 2, v3
	v_cmp_gt_u32_e64 s[0:1], s16, v6
	v_add_u32_e32 v6, 4, v3
	s_waitcnt lgkmcnt(0)
	v_add_f32_e32 v5, v4, v5
	v_cndmask_b32_e64 v4, v4, v5, s[0:1]
	v_cmp_gt_u32_e64 s[0:1], 12, v3
	v_cndmask_b32_e64 v5, 0, 1, s[0:1]
	v_lshlrev_b32_e32 v5, 2, v5
	v_add_lshl_u32 v5, v5, v2, 2
	ds_bpermute_b32 v5, v5, v4
	v_cmp_gt_u32_e64 s[0:1], s16, v6
	s_waitcnt lgkmcnt(0)
	v_add_f32_e32 v5, v4, v5
	v_cndmask_b32_e64 v4, v4, v5, s[0:1]
	v_cmp_gt_u32_e64 s[0:1], 8, v3
	v_cndmask_b32_e64 v5, 0, 1, s[0:1]
	v_lshlrev_b32_e32 v5, 3, v5
	v_add_lshl_u32 v2, v5, v2, 2
	ds_bpermute_b32 v2, v2, v4
	v_add_u32_e32 v3, 8, v3
	v_cmp_gt_u32_e64 s[0:1], s16, v3
	s_waitcnt lgkmcnt(0)
	v_add_f32_e32 v2, v4, v2
	v_cndmask_b32_e64 v2, v4, v2, s[0:1]
	v_cndmask_b32_e32 v1, v1, v2, vcc
.LBB42_30:
	s_or_b64 exec, exec, s[14:15]
	v_cmp_eq_u32_e32 vcc, 0, v0
	s_and_saveexec_b64 s[0:1], vcc
	s_cbranch_execz .LBB42_32
; %bb.31:
	v_cvt_f32_i32_e32 v2, s18
	s_load_dword s16, s[4:5], 0x40
	v_div_scale_f32 v3, s[14:15], v2, v2, v1
	v_rcp_f32_e32 v4, v3
	v_div_scale_f32 v5, vcc, v1, v2, v1
	s_mov_b32 s14, 0x800000
	v_fma_f32 v6, -v3, v4, 1.0
	v_fmac_f32_e32 v4, v6, v4
	v_mul_f32_e32 v6, v5, v4
	v_fma_f32 v7, -v3, v6, v5
	v_fmac_f32_e32 v6, v7, v4
	v_fma_f32 v3, -v3, v6, v5
	v_div_fmas_f32 v3, v3, v4, v6
	v_div_fixup_f32 v1, v3, v2, v1
	s_waitcnt lgkmcnt(0)
	v_add_f32_e32 v1, s16, v1
	v_mul_f32_e32 v2, 0x4b800000, v1
	v_cmp_gt_f32_e32 vcc, s14, v1
	v_cndmask_b32_e32 v1, v1, v2, vcc
	v_rsq_f32_e32 v1, v1
	v_mul_f32_e32 v2, 0x45800000, v1
	v_cndmask_b32_e32 v1, v1, v2, vcc
	v_mov_b32_e32 v2, 0
	ds_write_b32 v2, v1 offset:64
.LBB42_32:
	s_or_b64 exec, exec, s[0:1]
	s_ashr_i32 s0, s18, 31
	s_lshr_b32 s0, s0, 30
	s_add_i32 s0, s18, s0
	s_ashr_i32 s14, s0, 2
	v_cmp_gt_i32_e32 vcc, s14, v0
	s_waitcnt lgkmcnt(0)
	s_barrier
	s_and_saveexec_b64 s[0:1], vcc
	s_cbranch_execz .LBB42_35
; %bb.33:
	v_mov_b32_e32 v1, 0
	ds_read_b32 v2, v1 offset:64
	s_load_dwordx2 s[0:1], s[4:5], 0x0
	s_load_dwordx2 s[16:17], s[4:5], 0x38
	s_mul_i32 s4, s6, s18
	s_add_u32 s6, s8, s12
	s_addc_u32 s8, s9, s13
	s_add_u32 s6, s6, s10
	s_addc_u32 s8, s8, s11
	s_add_u32 s2, s2, s6
	v_lshlrev_b32_e32 v4, 3, v0
	s_addc_u32 s3, s3, s8
	s_mov_b32 s5, 0
	v_mov_b32_e32 v5, s3
	v_add_co_u32_e32 v1, vcc, s2, v4
	v_addc_co_u32_e32 v6, vcc, 0, v5, vcc
	s_lshl_b32 s6, s7, 3
	s_lshl_b64 s[2:3], s[4:5], 1
	s_waitcnt lgkmcnt(0)
	v_mov_b32_e32 v5, s17
	v_add_co_u32_e32 v7, vcc, s16, v4
	s_add_u32 s0, s0, s2
	v_addc_co_u32_e32 v8, vcc, 0, v5, vcc
	s_addc_u32 s1, s1, s3
	v_mov_b32_e32 v5, s1
	v_add_co_u32_e32 v9, vcc, s0, v4
	v_mov_b32_e32 v3, v2
	v_addc_co_u32_e32 v10, vcc, 0, v5, vcc
	s_mov_b64 s[2:3], 0
	v_mov_b32_e32 v4, v2
	v_mov_b32_e32 v5, v2
	s_movk_i32 s8, 0x7fff
	v_mov_b32_e32 v11, 0x7fc00000
	v_mov_b32_e32 v12, 0x7fc0
	s_mov_b64 s[4:5], 0
.LBB42_34:                              ; =>This Inner Loop Header: Depth=1
	v_mov_b32_e32 v13, s5
	v_add_co_u32_e64 v16, s[0:1], s4, v1
	v_add_co_u32_e32 v14, vcc, s4, v7
	v_addc_co_u32_e64 v17, s[0:1], v6, v13, s[0:1]
	v_addc_co_u32_e32 v15, vcc, v8, v13, vcc
	global_load_dwordx2 v[18:19], v[16:17], off
	global_load_dwordx2 v[20:21], v[14:15], off
	v_add_co_u32_e32 v14, vcc, s4, v9
	v_addc_co_u32_e32 v15, vcc, v10, v13, vcc
	v_add_u32_e32 v0, s7, v0
	s_add_u32 s4, s4, s6
	s_addc_u32 s5, s5, 0
	v_cmp_le_i32_e32 vcc, s14, v0
	s_or_b64 s[2:3], vcc, s[2:3]
	s_waitcnt vmcnt(1)
	v_alignbit_b32 v13, v19, v18, 16
	v_and_b32_e32 v16, 0xffff0000, v18
	v_lshlrev_b32_e32 v17, 16, v18
	v_and_b32_e32 v22, 0xffff0000, v19
	v_and_b32_e32 v23, 0xffff0000, v13
	v_pk_mul_f32 v[16:17], v[4:5], v[16:17]
	s_waitcnt vmcnt(0)
	v_alignbit_b32 v25, v21, v20, 16
	v_and_b32_e32 v18, 0xffff0000, v20
	v_and_b32_e32 v24, 0xffff0000, v21
	v_lshlrev_b32_e32 v19, 16, v20
	v_pk_mul_f32 v[20:21], v[2:3], v[22:23]
	v_bfe_u32 v13, v16, 16, 1
	v_bfe_u32 v22, v17, 16, 1
	;; [unrolled: 1-line block ×4, first 2 shown]
	v_add3_u32 v22, v17, v22, s8
	v_add3_u32 v13, v16, v13, s8
	v_add3_u32 v26, v21, v26, s8
	v_add3_u32 v23, v20, v23, s8
	v_and_b32_e32 v13, 0xffff0000, v13
	v_and_b32_e32 v22, 0xffff0000, v22
	v_cmp_o_f32_e32 vcc, v16, v16
	v_cmp_o_f32_e64 s[0:1], v17, v17
	v_and_b32_e32 v23, 0xffff0000, v23
	v_and_b32_e32 v26, 0xffff0000, v26
	v_cndmask_b32_e64 v17, v11, v22, s[0:1]
	v_cndmask_b32_e32 v16, v11, v13, vcc
	v_cmp_o_f32_e32 vcc, v20, v20
	v_cmp_o_f32_e64 s[0:1], v21, v21
	v_and_b32_e32 v25, 0xffff0000, v25
	v_cndmask_b32_e64 v21, v11, v26, s[0:1]
	v_cndmask_b32_e32 v20, v11, v23, vcc
	v_pk_mul_f32 v[16:17], v[16:17], v[18:19]
	v_pk_mul_f32 v[18:19], v[20:21], v[24:25]
	v_bfe_u32 v13, v17, 16, 1
	v_bfe_u32 v20, v16, 16, 1
	v_add3_u32 v13, v17, v13, s8
	v_add3_u32 v20, v16, v20, s8
	v_bfe_u32 v21, v19, 16, 1
	v_bfe_u32 v22, v18, 16, 1
	v_lshrrev_b32_e32 v13, 16, v13
	v_and_b32_e32 v20, 0xffff0000, v20
	v_add3_u32 v22, v18, v22, s8
	v_add3_u32 v21, v19, v21, s8
	v_cmp_o_f32_e32 vcc, v17, v17
	v_cmp_o_f32_e64 s[0:1], v16, v16
	v_lshrrev_b32_e32 v16, 16, v21
	v_and_b32_e32 v17, 0xffff0000, v22
	v_cndmask_b32_e64 v20, v11, v20, s[0:1]
	v_cmp_o_f32_e64 s[0:1], v19, v19
	v_cndmask_b32_e32 v13, v12, v13, vcc
	v_cmp_o_f32_e32 vcc, v18, v18
	v_cndmask_b32_e32 v17, v11, v17, vcc
	v_cndmask_b32_e64 v18, v12, v16, s[0:1]
	v_or3_b32 v16, 0, v20, v13
	v_or3_b32 v17, v17, 0, v18
	global_store_dwordx2 v[14:15], v[16:17], off
	s_andn2_b64 exec, exec, s[2:3]
	s_cbranch_execnz .LBB42_34
.LBB42_35:
	s_endpgm
.LBB42_36:
                                        ; implicit-def: $sgpr16_sgpr17
	s_branch .LBB42_2
.LBB42_37:
                                        ; implicit-def: $sgpr0_sgpr1
	s_branch .LBB42_5
	.section	.rodata,"a",@progbits
	.p2align	6, 0x0
	.amdhsa_kernel _ZN4vllm15rms_norm_kernelIN3c108BFloat16ELi4ELi4EEEvPT_PKS3_lllllS6_fii
		.amdhsa_group_segment_fixed_size 68
		.amdhsa_private_segment_fixed_size 0
		.amdhsa_kernarg_size 336
		.amdhsa_user_sgpr_count 6
		.amdhsa_user_sgpr_private_segment_buffer 1
		.amdhsa_user_sgpr_dispatch_ptr 0
		.amdhsa_user_sgpr_queue_ptr 0
		.amdhsa_user_sgpr_kernarg_segment_ptr 1
		.amdhsa_user_sgpr_dispatch_id 0
		.amdhsa_user_sgpr_flat_scratch_init 0
		.amdhsa_user_sgpr_kernarg_preload_length 0
		.amdhsa_user_sgpr_kernarg_preload_offset 0
		.amdhsa_user_sgpr_private_segment_size 0
		.amdhsa_uses_dynamic_stack 0
		.amdhsa_system_sgpr_private_segment_wavefront_offset 0
		.amdhsa_system_sgpr_workgroup_id_x 1
		.amdhsa_system_sgpr_workgroup_id_y 0
		.amdhsa_system_sgpr_workgroup_id_z 0
		.amdhsa_system_sgpr_workgroup_info 0
		.amdhsa_system_vgpr_workitem_id 0
		.amdhsa_next_free_vgpr 27
		.amdhsa_next_free_sgpr 35
		.amdhsa_accum_offset 28
		.amdhsa_reserve_vcc 1
		.amdhsa_reserve_flat_scratch 0
		.amdhsa_float_round_mode_32 0
		.amdhsa_float_round_mode_16_64 0
		.amdhsa_float_denorm_mode_32 3
		.amdhsa_float_denorm_mode_16_64 3
		.amdhsa_dx10_clamp 1
		.amdhsa_ieee_mode 1
		.amdhsa_fp16_overflow 0
		.amdhsa_tg_split 0
		.amdhsa_exception_fp_ieee_invalid_op 0
		.amdhsa_exception_fp_denorm_src 0
		.amdhsa_exception_fp_ieee_div_zero 0
		.amdhsa_exception_fp_ieee_overflow 0
		.amdhsa_exception_fp_ieee_underflow 0
		.amdhsa_exception_fp_ieee_inexact 0
		.amdhsa_exception_int_div_zero 0
	.end_amdhsa_kernel
	.section	.text._ZN4vllm15rms_norm_kernelIN3c108BFloat16ELi4ELi4EEEvPT_PKS3_lllllS6_fii,"axG",@progbits,_ZN4vllm15rms_norm_kernelIN3c108BFloat16ELi4ELi4EEEvPT_PKS3_lllllS6_fii,comdat
.Lfunc_end42:
	.size	_ZN4vllm15rms_norm_kernelIN3c108BFloat16ELi4ELi4EEEvPT_PKS3_lllllS6_fii, .Lfunc_end42-_ZN4vllm15rms_norm_kernelIN3c108BFloat16ELi4ELi4EEEvPT_PKS3_lllllS6_fii
                                        ; -- End function
	.section	.AMDGPU.csdata,"",@progbits
; Kernel info:
; codeLenInByte = 3780
; NumSgprs: 39
; NumVgprs: 27
; NumAgprs: 0
; TotalNumVgprs: 27
; ScratchSize: 0
; MemoryBound: 0
; FloatMode: 240
; IeeeMode: 1
; LDSByteSize: 68 bytes/workgroup (compile time only)
; SGPRBlocks: 4
; VGPRBlocks: 3
; NumSGPRsForWavesPerEU: 39
; NumVGPRsForWavesPerEU: 27
; AccumOffset: 28
; Occupancy: 8
; WaveLimiterHint : 0
; COMPUTE_PGM_RSRC2:SCRATCH_EN: 0
; COMPUTE_PGM_RSRC2:USER_SGPR: 6
; COMPUTE_PGM_RSRC2:TRAP_HANDLER: 0
; COMPUTE_PGM_RSRC2:TGID_X_EN: 1
; COMPUTE_PGM_RSRC2:TGID_Y_EN: 0
; COMPUTE_PGM_RSRC2:TGID_Z_EN: 0
; COMPUTE_PGM_RSRC2:TIDIG_COMP_CNT: 0
; COMPUTE_PGM_RSRC3_GFX90A:ACCUM_OFFSET: 6
; COMPUTE_PGM_RSRC3_GFX90A:TG_SPLIT: 0
	.section	.text._ZN4vllm15rms_norm_kernelIN3c108BFloat16ELi2ELi4EEEvPT_PKS3_lllllS6_fii,"axG",@progbits,_ZN4vllm15rms_norm_kernelIN3c108BFloat16ELi2ELi4EEEvPT_PKS3_lllllS6_fii,comdat
	.protected	_ZN4vllm15rms_norm_kernelIN3c108BFloat16ELi2ELi4EEEvPT_PKS3_lllllS6_fii ; -- Begin function _ZN4vllm15rms_norm_kernelIN3c108BFloat16ELi2ELi4EEEvPT_PKS3_lllllS6_fii
	.globl	_ZN4vllm15rms_norm_kernelIN3c108BFloat16ELi2ELi4EEEvPT_PKS3_lllllS6_fii
	.p2align	8
	.type	_ZN4vllm15rms_norm_kernelIN3c108BFloat16ELi2ELi4EEEvPT_PKS3_lllllS6_fii,@function
_ZN4vllm15rms_norm_kernelIN3c108BFloat16ELi2ELi4EEEvPT_PKS3_lllllS6_fii: ; @_ZN4vllm15rms_norm_kernelIN3c108BFloat16ELi2ELi4EEEvPT_PKS3_lllllS6_fii
; %bb.0:
	s_load_dwordx8 s[8:15], s[4:5], 0x10
	s_load_dwordx2 s[2:3], s[4:5], 0x30
	s_mov_b32 s0, 0
	s_waitcnt lgkmcnt(0)
	s_mul_i32 s1, s2, s15
	s_mul_hi_u32 s7, s2, s14
	s_add_i32 s1, s7, s1
	s_mul_i32 s3, s3, s14
	s_add_i32 s1, s1, s3
	s_cmp_lg_u64 s[0:1], 0
	s_mul_i32 s7, s2, s14
	s_cbranch_scc0 .LBB43_35
; %bb.1:
	s_ashr_i32 s16, s1, 31
	s_add_u32 s0, s7, s16
	s_mov_b32 s17, s16
	s_addc_u32 s1, s1, s16
	s_xor_b64 s[2:3], s[0:1], s[16:17]
	v_cvt_f32_u32_e32 v1, s2
	v_cvt_f32_u32_e32 v2, s3
	s_sub_u32 s0, 0, s2
	s_subb_u32 s1, 0, s3
	v_madmk_f32 v1, v2, 0x4f800000, v1
	v_rcp_f32_e32 v1, v1
	v_mul_f32_e32 v1, 0x5f7ffffc, v1
	v_mul_f32_e32 v2, 0x2f800000, v1
	v_trunc_f32_e32 v2, v2
	v_madmk_f32 v1, v2, 0xcf800000, v1
	v_cvt_u32_f32_e32 v2, v2
	v_cvt_u32_f32_e32 v1, v1
	v_readfirstlane_b32 s20, v2
	v_readfirstlane_b32 s21, v1
	s_mul_i32 s22, s0, s20
	s_mul_hi_u32 s24, s0, s21
	s_mul_i32 s23, s1, s21
	s_add_i32 s22, s24, s22
	s_add_i32 s22, s22, s23
	s_mul_i32 s25, s0, s21
	s_mul_hi_u32 s23, s21, s22
	s_mul_i32 s24, s21, s22
	s_mul_hi_u32 s21, s21, s25
	s_add_u32 s21, s21, s24
	s_addc_u32 s23, 0, s23
	s_mul_hi_u32 s26, s20, s25
	s_mul_i32 s25, s20, s25
	s_add_u32 s21, s21, s25
	s_mul_hi_u32 s24, s20, s22
	s_addc_u32 s21, s23, s26
	s_addc_u32 s23, s24, 0
	s_mul_i32 s22, s20, s22
	s_add_u32 s21, s21, s22
	s_addc_u32 s22, 0, s23
	v_add_co_u32_e32 v1, vcc, s21, v1
	s_cmp_lg_u64 vcc, 0
	s_addc_u32 s20, s20, s22
	v_readfirstlane_b32 s22, v1
	s_mul_i32 s21, s0, s20
	s_mul_hi_u32 s23, s0, s22
	s_add_i32 s21, s23, s21
	s_mul_i32 s1, s1, s22
	s_add_i32 s21, s21, s1
	s_mul_i32 s0, s0, s22
	s_mul_hi_u32 s23, s20, s0
	s_mul_i32 s24, s20, s0
	s_mul_i32 s26, s22, s21
	s_mul_hi_u32 s0, s22, s0
	s_mul_hi_u32 s25, s22, s21
	s_add_u32 s0, s0, s26
	s_addc_u32 s22, 0, s25
	s_add_u32 s0, s0, s24
	s_mul_hi_u32 s1, s20, s21
	s_addc_u32 s0, s22, s23
	s_addc_u32 s1, s1, 0
	s_mul_i32 s21, s20, s21
	s_add_u32 s0, s0, s21
	s_addc_u32 s1, 0, s1
	v_add_co_u32_e32 v1, vcc, s0, v1
	s_cmp_lg_u64 vcc, 0
	s_addc_u32 s0, s20, s1
	v_readfirstlane_b32 s20, v1
	s_mul_hi_u32 s1, s6, s0
	s_mul_i32 s0, s6, s0
	s_mul_hi_u32 s20, s6, s20
	s_add_u32 s0, s20, s0
	s_addc_u32 s1, 0, s1
	s_add_u32 s0, s0, 0
	s_addc_u32 s0, s1, 0
	s_addc_u32 s1, 0, 0
	s_add_u32 s20, s0, 0
	s_addc_u32 s21, 0, s1
	s_mul_i32 s0, s2, s21
	s_mul_hi_u32 s1, s2, s20
	s_add_i32 s0, s1, s0
	s_mul_i32 s1, s3, s20
	s_add_i32 s22, s0, s1
	s_mul_i32 s1, s2, s20
	v_mov_b32_e32 v1, s1
	s_sub_i32 s0, 0, s22
	v_sub_co_u32_e32 v1, vcc, s6, v1
	s_cmp_lg_u64 vcc, 0
	s_subb_u32 s23, s0, s3
	v_subrev_co_u32_e64 v2, s[0:1], s2, v1
	s_cmp_lg_u64 s[0:1], 0
	s_subb_u32 s0, s23, 0
	s_cmp_ge_u32 s0, s3
	v_readfirstlane_b32 s23, v2
	s_cselect_b32 s1, -1, 0
	s_cmp_ge_u32 s23, s2
	s_cselect_b32 s23, -1, 0
	s_cmp_eq_u32 s0, s3
	s_cselect_b32 s0, s23, s1
	s_add_u32 s1, s20, 1
	s_addc_u32 s23, s21, 0
	s_add_u32 s24, s20, 2
	s_addc_u32 s25, s21, 0
	s_cmp_lg_u32 s0, 0
	s_cselect_b32 s0, s24, s1
	s_cselect_b32 s1, s25, s23
	s_cmp_lg_u64 vcc, 0
	s_subb_u32 s22, 0, s22
	s_cmp_ge_u32 s22, s3
	v_readfirstlane_b32 s24, v1
	s_cselect_b32 s23, -1, 0
	s_cmp_ge_u32 s24, s2
	s_cselect_b32 s2, -1, 0
	s_cmp_eq_u32 s22, s3
	s_cselect_b32 s2, s2, s23
	s_cmp_lg_u32 s2, 0
	s_cselect_b32 s1, s1, s21
	s_cselect_b32 s0, s0, s20
	s_xor_b64 s[0:1], s[0:1], s[16:17]
	s_sub_u32 s2, s0, s16
	s_subb_u32 s3, s1, s16
	s_cbranch_execnz .LBB43_3
.LBB43_2:
	v_cvt_f32_u32_e32 v1, s7
	s_sub_i32 s0, 0, s7
	s_mov_b32 s3, 0
	v_rcp_iflag_f32_e32 v1, v1
	v_mul_f32_e32 v1, 0x4f7ffffe, v1
	v_cvt_u32_f32_e32 v1, v1
	v_readfirstlane_b32 s1, v1
	s_mul_i32 s0, s0, s1
	s_mul_hi_u32 s0, s1, s0
	s_add_i32 s1, s1, s0
	s_mul_hi_u32 s0, s6, s1
	s_mul_i32 s2, s0, s7
	s_sub_i32 s2, s6, s2
	s_add_i32 s1, s0, 1
	s_sub_i32 s16, s2, s7
	s_cmp_ge_u32 s2, s7
	s_cselect_b32 s0, s1, s0
	s_cselect_b32 s2, s16, s2
	s_add_i32 s1, s0, 1
	s_cmp_ge_u32 s2, s7
	s_cselect_b32 s2, s1, s0
.LBB43_3:
	s_mul_i32 s0, s2, s7
	s_load_dwordx2 s[16:17], s[4:5], 0x8
	s_sub_i32 s18, s6, s0
	s_ashr_i32 s19, s18, 31
	s_or_b64 s[0:1], s[18:19], s[14:15]
	s_mov_b32 s0, 0
	s_cmp_lg_u64 s[0:1], 0
	s_cbranch_scc0 .LBB43_36
; %bb.4:
	s_ashr_i32 s20, s15, 31
	s_add_u32 s0, s14, s20
	s_mov_b32 s21, s20
	s_addc_u32 s1, s15, s20
	s_xor_b64 s[24:25], s[0:1], s[20:21]
	v_cvt_f32_u32_e32 v1, s24
	v_cvt_f32_u32_e32 v2, s25
	s_sub_u32 s0, 0, s24
	s_subb_u32 s1, 0, s25
	v_madmk_f32 v1, v2, 0x4f800000, v1
	v_rcp_f32_e32 v1, v1
	v_mul_f32_e32 v1, 0x5f7ffffc, v1
	v_mul_f32_e32 v2, 0x2f800000, v1
	v_trunc_f32_e32 v2, v2
	v_madmk_f32 v1, v2, 0xcf800000, v1
	v_cvt_u32_f32_e32 v2, v2
	v_cvt_u32_f32_e32 v1, v1
	v_readfirstlane_b32 s7, v2
	v_readfirstlane_b32 s26, v1
	s_mul_i32 s27, s0, s7
	s_mul_hi_u32 s29, s0, s26
	s_mul_i32 s28, s1, s26
	s_add_i32 s27, s29, s27
	s_add_i32 s27, s27, s28
	s_mul_i32 s30, s0, s26
	s_mul_hi_u32 s28, s26, s27
	s_mul_i32 s29, s26, s27
	s_mul_hi_u32 s26, s26, s30
	s_add_u32 s26, s26, s29
	s_addc_u32 s28, 0, s28
	s_mul_hi_u32 s31, s7, s30
	s_mul_i32 s30, s7, s30
	s_add_u32 s26, s26, s30
	s_mul_hi_u32 s29, s7, s27
	s_addc_u32 s26, s28, s31
	s_addc_u32 s28, s29, 0
	s_mul_i32 s27, s7, s27
	s_add_u32 s26, s26, s27
	s_addc_u32 s27, 0, s28
	v_add_co_u32_e32 v1, vcc, s26, v1
	s_cmp_lg_u64 vcc, 0
	s_addc_u32 s7, s7, s27
	v_readfirstlane_b32 s27, v1
	s_mul_i32 s26, s0, s7
	s_mul_hi_u32 s28, s0, s27
	s_add_i32 s26, s28, s26
	s_mul_i32 s1, s1, s27
	s_add_i32 s26, s26, s1
	s_mul_i32 s0, s0, s27
	s_mul_hi_u32 s28, s7, s0
	s_mul_i32 s29, s7, s0
	s_mul_i32 s31, s27, s26
	s_mul_hi_u32 s0, s27, s0
	s_mul_hi_u32 s30, s27, s26
	s_add_u32 s0, s0, s31
	s_addc_u32 s27, 0, s30
	s_add_u32 s0, s0, s29
	s_mul_hi_u32 s1, s7, s26
	s_addc_u32 s0, s27, s28
	s_addc_u32 s1, s1, 0
	s_mul_i32 s26, s7, s26
	s_add_u32 s0, s0, s26
	s_addc_u32 s1, 0, s1
	v_add_co_u32_e32 v1, vcc, s0, v1
	s_cmp_lg_u64 vcc, 0
	s_addc_u32 s7, s7, s1
	s_add_u32 s0, s18, s19
	s_mov_b32 s26, s19
	s_mov_b32 s27, s19
	s_addc_u32 s1, s19, s19
	s_xor_b64 s[28:29], s[0:1], s[26:27]
	v_readfirstlane_b32 s30, v1
	s_mul_i32 s1, s28, s7
	s_mul_hi_u32 s31, s28, s30
	s_mul_hi_u32 s0, s28, s7
	s_add_u32 s1, s31, s1
	s_addc_u32 s0, 0, s0
	s_mul_hi_u32 s33, s29, s30
	s_mul_i32 s30, s29, s30
	s_add_u32 s1, s1, s30
	s_mul_hi_u32 s31, s29, s7
	s_addc_u32 s0, s0, s33
	s_addc_u32 s1, s31, 0
	s_mul_i32 s7, s29, s7
	s_add_u32 s7, s0, s7
	s_addc_u32 s30, 0, s1
	s_mul_i32 s0, s24, s30
	s_mul_hi_u32 s1, s24, s7
	s_add_i32 s0, s1, s0
	s_mul_i32 s1, s25, s7
	s_add_i32 s31, s0, s1
	s_mul_i32 s1, s24, s7
	v_mov_b32_e32 v1, s1
	s_sub_i32 s0, s29, s31
	v_sub_co_u32_e32 v1, vcc, s28, v1
	s_cmp_lg_u64 vcc, 0
	s_subb_u32 s28, s0, s25
	v_subrev_co_u32_e64 v2, s[0:1], s24, v1
	s_cmp_lg_u64 s[0:1], 0
	s_subb_u32 s0, s28, 0
	s_cmp_ge_u32 s0, s25
	v_readfirstlane_b32 s28, v2
	s_cselect_b32 s1, -1, 0
	s_cmp_ge_u32 s28, s24
	s_cselect_b32 s28, -1, 0
	s_cmp_eq_u32 s0, s25
	s_cselect_b32 s0, s28, s1
	s_add_u32 s1, s7, 1
	s_addc_u32 s28, s30, 0
	s_add_u32 s33, s7, 2
	s_addc_u32 s34, s30, 0
	s_cmp_lg_u32 s0, 0
	s_cselect_b32 s0, s33, s1
	s_cselect_b32 s1, s34, s28
	s_cmp_lg_u64 vcc, 0
	s_subb_u32 s28, s29, s31
	s_cmp_ge_u32 s28, s25
	v_readfirstlane_b32 s31, v1
	s_cselect_b32 s29, -1, 0
	s_cmp_ge_u32 s31, s24
	s_cselect_b32 s24, -1, 0
	s_cmp_eq_u32 s28, s25
	s_cselect_b32 s24, s24, s29
	s_cmp_lg_u32 s24, 0
	s_cselect_b32 s1, s1, s30
	s_cselect_b32 s0, s0, s7
	s_xor_b64 s[20:21], s[26:27], s[20:21]
	s_xor_b64 s[0:1], s[0:1], s[20:21]
	s_sub_u32 s0, s0, s20
	s_subb_u32 s1, s1, s21
	s_cbranch_execnz .LBB43_6
.LBB43_5:
	v_cvt_f32_u32_e32 v1, s14
	s_sub_i32 s0, 0, s14
	s_mov_b32 s1, 0
	v_rcp_iflag_f32_e32 v1, v1
	v_mul_f32_e32 v1, 0x4f7ffffe, v1
	v_cvt_u32_f32_e32 v1, v1
	v_readfirstlane_b32 s7, v1
	s_mul_i32 s0, s0, s7
	s_mul_hi_u32 s0, s7, s0
	s_add_i32 s7, s7, s0
	s_mul_hi_u32 s0, s18, s7
	s_mul_i32 s20, s0, s14
	s_sub_i32 s20, s18, s20
	s_add_i32 s7, s0, 1
	s_sub_i32 s21, s20, s14
	s_cmp_ge_u32 s20, s14
	s_cselect_b32 s0, s7, s0
	s_cselect_b32 s20, s21, s20
	s_add_i32 s7, s0, 1
	s_cmp_ge_u32 s20, s14
	s_cselect_b32 s0, s7, s0
.LBB43_6:
	s_mul_i32 s7, s0, s15
	s_mul_hi_u32 s15, s0, s14
	s_add_i32 s7, s15, s7
	s_mul_i32 s15, s1, s14
	s_add_i32 s7, s7, s15
	s_mul_i32 s14, s0, s14
	s_sub_u32 s18, s18, s14
	s_subb_u32 s7, s19, s7
	s_bfe_i64 s[14:15], s[2:3], 0x200000
	s_mul_i32 s3, s2, s13
	s_mul_hi_u32 s13, s2, s12
	s_add_i32 s3, s13, s3
	s_mul_i32 s13, s15, s12
	s_add_i32 s3, s3, s13
	s_mul_i32 s2, s2, s12
	s_lshl_b64 s[12:13], s[2:3], 1
	s_waitcnt lgkmcnt(0)
	s_add_u32 s14, s16, s12
	s_addc_u32 s15, s17, s13
	s_bfe_i64 s[2:3], s[0:1], 0x200000
	s_mul_i32 s1, s0, s11
	s_mul_hi_u32 s2, s0, s10
	s_add_i32 s1, s2, s1
	s_mul_i32 s2, s3, s10
	s_add_i32 s1, s1, s2
	s_mul_i32 s0, s0, s10
	s_lshl_b64 s[10:11], s[0:1], 1
	s_add_u32 s2, s14, s10
	s_mul_i32 s0, s18, s9
	s_mul_hi_u32 s1, s18, s8
	s_addc_u32 s3, s15, s11
	s_add_i32 s0, s1, s0
	s_mul_i32 s7, s7, s8
	s_add_i32 s1, s0, s7
	s_load_dword s7, s[4:5], 0x48
	s_load_dword s19, s[4:5], 0x5c
	s_mul_i32 s0, s18, s8
	s_lshl_b64 s[8:9], s[0:1], 1
	s_add_u32 s14, s2, s8
	s_addc_u32 s15, s3, s9
	s_waitcnt lgkmcnt(0)
	s_and_b32 s28, s19, 0xffff
	s_and_b32 s0, s14, 3
	s_mov_b32 s1, 0
	s_cmp_lg_u64 s[0:1], 0
	s_cselect_b64 s[0:1], -1, 0
	s_bitcmp1_b32 s7, 0
	s_cselect_b64 s[2:3], -1, 0
	s_or_b64 s[0:1], s[2:3], s[0:1]
	s_and_b64 vcc, exec, s[0:1]
	s_cbranch_vccz .LBB43_19
; %bb.7:
	s_sub_i32 s0, 0, s14
	s_bfe_u32 s0, s0, 0x10001
	s_min_i32 s0, s0, s7
	v_cmp_gt_i32_e32 vcc, s0, v0
	v_mov_b32_e32 v1, 0
	s_and_saveexec_b64 s[2:3], vcc
	s_cbranch_execz .LBB43_10
; %bb.8:
	s_lshl_b32 s1, s28, 1
	s_mov_b32 s20, 0
	v_mov_b32_e32 v2, 0
	s_mov_b64 s[18:19], s[14:15]
	v_mov_b32_e32 v1, 0
.LBB43_9:                               ; =>This Inner Loop Header: Depth=1
	global_load_ushort v3, v2, s[18:19]
	s_add_i32 s20, s20, s28
	s_add_u32 s18, s18, s1
	s_addc_u32 s19, s19, 0
	s_cmp_ge_i32 s20, s0
	s_waitcnt vmcnt(0)
	v_lshlrev_b32_e32 v3, 16, v3
	v_fmac_f32_e32 v1, v3, v3
	s_cbranch_scc0 .LBB43_9
.LBB43_10:
	s_or_b64 exec, exec, s[2:3]
	s_sub_i32 s20, s7, s0
	s_lshr_b32 s2, s20, 31
	s_add_i32 s2, s20, s2
	s_ashr_i32 s21, s2, 1
	s_ashr_i32 s1, s0, 31
	v_cmp_gt_i32_e32 vcc, s21, v0
	s_and_saveexec_b64 s[2:3], vcc
	s_cbranch_execz .LBB43_14
; %bb.11:
	s_add_u32 s18, s8, s12
	s_addc_u32 s19, s9, s13
	s_add_u32 s22, s18, s10
	s_addc_u32 s23, s19, s11
	s_lshl_b64 s[18:19], s[0:1], 1
	s_add_u32 s18, s16, s18
	s_addc_u32 s19, s17, s19
	s_add_u32 s18, s18, s22
	v_lshlrev_b32_e32 v2, 2, v0
	s_addc_u32 s19, s19, s23
	s_mov_b32 s24, 0
	v_mov_b32_e32 v3, s19
	v_add_co_u32_e32 v2, vcc, s18, v2
	v_addc_co_u32_e32 v3, vcc, 0, v3, vcc
	s_lshl_b32 s22, s28, 2
	s_mov_b64 s[18:19], 0
	v_mov_b32_e32 v4, s24
	v_mov_b32_e32 v5, v0
.LBB43_12:                              ; =>This Inner Loop Header: Depth=1
	global_load_dword v6, v[2:3], off
	v_add_co_u32_e32 v2, vcc, s22, v2
	v_add_u32_e32 v5, s28, v5
	v_addc_co_u32_e32 v3, vcc, v3, v4, vcc
	v_cmp_le_i32_e32 vcc, s21, v5
	s_or_b64 s[18:19], vcc, s[18:19]
	s_waitcnt vmcnt(0)
	v_and_b32_e32 v7, 0xffff0000, v6
	v_lshlrev_b32_e32 v6, 16, v6
	v_pk_mul_f32 v[6:7], v[6:7], v[6:7]
	v_add_f32_e32 v1, v1, v6
	v_add_f32_e32 v1, v1, v7
	s_andn2_b64 exec, exec, s[18:19]
	s_cbranch_execnz .LBB43_12
; %bb.13:
	s_or_b64 exec, exec, s[18:19]
.LBB43_14:
	s_or_b64 exec, exec, s[2:3]
	v_lshl_add_u32 v2, s21, 1, v0
	v_cmp_gt_i32_e32 vcc, s20, v2
	s_and_saveexec_b64 s[2:3], vcc
	s_cbranch_execz .LBB43_18
; %bb.15:
	s_add_u32 s18, s8, s12
	s_addc_u32 s19, s9, s13
	s_add_u32 s18, s18, s10
	s_addc_u32 s19, s19, s11
	s_lshl_b64 s[0:1], s[0:1], 1
	s_add_u32 s0, s18, s0
	s_addc_u32 s1, s19, s1
	v_ashrrev_i32_e32 v3, 31, v2
	s_add_u32 s0, s16, s0
	v_lshlrev_b64 v[4:5], 1, v[2:3]
	s_addc_u32 s1, s17, s1
	v_mov_b32_e32 v3, s1
	v_add_co_u32_e32 v4, vcc, s0, v4
	s_mov_b32 s19, 0
	v_addc_co_u32_e32 v5, vcc, v3, v5, vcc
	s_lshl_b32 s18, s28, 1
	s_mov_b64 s[0:1], 0
	v_mov_b32_e32 v3, s19
.LBB43_16:                              ; =>This Inner Loop Header: Depth=1
	global_load_ushort v6, v[4:5], off
	v_add_co_u32_e32 v4, vcc, s18, v4
	v_add_u32_e32 v2, s28, v2
	v_addc_co_u32_e32 v5, vcc, v5, v3, vcc
	v_cmp_le_i32_e32 vcc, s20, v2
	s_or_b64 s[0:1], vcc, s[0:1]
	s_waitcnt vmcnt(0)
	v_lshlrev_b32_e32 v6, 16, v6
	v_fmac_f32_e32 v1, v6, v6
	s_andn2_b64 exec, exec, s[0:1]
	s_cbranch_execnz .LBB43_16
; %bb.17:
	s_or_b64 exec, exec, s[0:1]
.LBB43_18:
	s_or_b64 exec, exec, s[2:3]
	s_branch .LBB43_25
.LBB43_19:
                                        ; implicit-def: $vgpr1
	s_cbranch_execz .LBB43_25
; %bb.20:
	s_ashr_i32 s18, s7, 1
	v_cmp_gt_i32_e32 vcc, s18, v0
	v_mov_b32_e32 v1, 0
	s_and_saveexec_b64 s[0:1], vcc
	s_cbranch_execz .LBB43_24
; %bb.21:
	s_add_u32 s2, s8, s12
	s_addc_u32 s3, s9, s13
	s_add_u32 s2, s2, s10
	s_addc_u32 s3, s3, s11
	s_add_u32 s2, s16, s2
	v_lshlrev_b32_e32 v1, 2, v0
	s_addc_u32 s3, s17, s3
	s_mov_b32 s20, 0
	v_mov_b32_e32 v3, s3
	v_add_co_u32_e32 v2, vcc, s2, v1
	v_addc_co_u32_e32 v3, vcc, 0, v3, vcc
	s_lshl_b32 s19, s28, 2
	s_mov_b64 s[2:3], 0
	v_mov_b32_e32 v1, 0
	v_mov_b32_e32 v4, s20
	;; [unrolled: 1-line block ×3, first 2 shown]
.LBB43_22:                              ; =>This Inner Loop Header: Depth=1
	global_load_dword v7, v[2:3], off
	v_add_co_u32_e32 v2, vcc, s19, v2
	v_add_u32_e32 v5, s28, v5
	v_addc_co_u32_e32 v3, vcc, v3, v4, vcc
	v_cmp_le_i32_e32 vcc, s18, v5
	s_or_b64 s[2:3], vcc, s[2:3]
	s_waitcnt vmcnt(0)
	v_and_b32_e32 v6, 0xffff0000, v7
	v_lshlrev_b32_e32 v7, 16, v7
	v_pk_mul_f32 v[6:7], v[6:7], v[6:7]
	v_add_f32_e32 v1, v1, v7
	v_add_f32_e32 v1, v6, v1
	s_andn2_b64 exec, exec, s[2:3]
	s_cbranch_execnz .LBB43_22
; %bb.23:
	s_or_b64 exec, exec, s[2:3]
.LBB43_24:
	s_or_b64 exec, exec, s[0:1]
.LBB43_25:
	v_mbcnt_lo_u32_b32 v2, -1, 0
	v_mbcnt_hi_u32_b32 v2, -1, v2
	v_and_b32_e32 v3, 63, v2
	v_cmp_ne_u32_e32 vcc, 63, v3
	v_addc_co_u32_e32 v4, vcc, 0, v2, vcc
	v_lshlrev_b32_e32 v4, 2, v4
	ds_bpermute_b32 v4, v4, v1
	v_and_b32_e32 v5, 0x3c0, v0
	v_sub_u32_e64 v5, s28, v5 clamp
	v_add_u32_e32 v6, 1, v2
	v_cmp_lt_u32_e32 vcc, v6, v5
	s_waitcnt lgkmcnt(0)
	v_add_f32_e32 v4, v1, v4
	v_cndmask_b32_e32 v1, v1, v4, vcc
	v_cmp_gt_u32_e32 vcc, 62, v3
	v_cndmask_b32_e64 v4, 0, 1, vcc
	v_lshlrev_b32_e32 v4, 1, v4
	v_add_lshl_u32 v4, v4, v2, 2
	ds_bpermute_b32 v4, v4, v1
	v_add_u32_e32 v6, 2, v2
	v_cmp_lt_u32_e32 vcc, v6, v5
	v_add_u32_e32 v6, 4, v2
	s_waitcnt lgkmcnt(0)
	v_add_f32_e32 v4, v1, v4
	v_cndmask_b32_e32 v1, v1, v4, vcc
	v_cmp_gt_u32_e32 vcc, 60, v3
	v_cndmask_b32_e64 v4, 0, 1, vcc
	v_lshlrev_b32_e32 v4, 2, v4
	v_add_lshl_u32 v4, v4, v2, 2
	ds_bpermute_b32 v4, v4, v1
	v_cmp_lt_u32_e32 vcc, v6, v5
	v_add_u32_e32 v6, 8, v2
	s_waitcnt lgkmcnt(0)
	v_add_f32_e32 v4, v1, v4
	v_cndmask_b32_e32 v1, v1, v4, vcc
	v_cmp_gt_u32_e32 vcc, 56, v3
	v_cndmask_b32_e64 v4, 0, 1, vcc
	v_lshlrev_b32_e32 v4, 3, v4
	v_add_lshl_u32 v4, v4, v2, 2
	ds_bpermute_b32 v4, v4, v1
	;; [unrolled: 10-line block ×3, first 2 shown]
	v_cmp_lt_u32_e32 vcc, v6, v5
	s_waitcnt lgkmcnt(0)
	v_add_f32_e32 v4, v1, v4
	v_cndmask_b32_e32 v1, v1, v4, vcc
	v_cmp_gt_u32_e32 vcc, 32, v3
	v_cndmask_b32_e64 v3, 0, 1, vcc
	v_lshlrev_b32_e32 v3, 5, v3
	v_add_lshl_u32 v3, v3, v2, 2
	ds_bpermute_b32 v3, v3, v1
	v_add_u32_e32 v4, 32, v2
	v_cmp_lt_u32_e32 vcc, v4, v5
	s_waitcnt lgkmcnt(0)
	v_add_f32_e32 v3, v1, v3
	v_cndmask_b32_e32 v1, v1, v3, vcc
	v_cmp_eq_u32_e32 vcc, 0, v2
	s_and_saveexec_b64 s[0:1], vcc
	s_cbranch_execz .LBB43_27
; %bb.26:
	v_lshrrev_b32_e32 v3, 4, v0
	v_and_b32_e32 v3, 60, v3
	ds_write_b32 v3, v1
.LBB43_27:
	s_or_b64 exec, exec, s[0:1]
	v_cmp_gt_u32_e32 vcc, 16, v0
	s_waitcnt lgkmcnt(0)
	s_barrier
	s_and_saveexec_b64 s[2:3], vcc
	s_cbranch_execz .LBB43_29
; %bb.28:
	v_lshlrev_b32_e32 v1, 2, v2
	ds_read_b32 v1, v1
	v_and_b32_e32 v3, 15, v2
	v_cmp_ne_u32_e32 vcc, 15, v3
	v_addc_co_u32_e32 v4, vcc, 0, v2, vcc
	v_lshlrev_b32_e32 v4, 2, v4
	s_waitcnt lgkmcnt(0)
	ds_bpermute_b32 v4, v4, v1
	s_add_i32 s0, s28, 63
	s_lshr_b32 s18, s0, 6
	v_add_u32_e32 v5, 1, v3
	v_cmp_gt_u32_e64 s[0:1], 14, v3
	v_cmp_gt_u32_e32 vcc, s18, v5
	v_cndmask_b32_e64 v5, 0, 1, s[0:1]
	s_waitcnt lgkmcnt(0)
	v_add_f32_e32 v4, v1, v4
	v_lshlrev_b32_e32 v5, 1, v5
	v_cndmask_b32_e32 v4, v1, v4, vcc
	v_add_lshl_u32 v5, v5, v2, 2
	ds_bpermute_b32 v5, v5, v4
	v_add_u32_e32 v6, 2, v3
	v_cmp_gt_u32_e64 s[0:1], s18, v6
	v_add_u32_e32 v6, 4, v3
	s_waitcnt lgkmcnt(0)
	v_add_f32_e32 v5, v4, v5
	v_cndmask_b32_e64 v4, v4, v5, s[0:1]
	v_cmp_gt_u32_e64 s[0:1], 12, v3
	v_cndmask_b32_e64 v5, 0, 1, s[0:1]
	v_lshlrev_b32_e32 v5, 2, v5
	v_add_lshl_u32 v5, v5, v2, 2
	ds_bpermute_b32 v5, v5, v4
	v_cmp_gt_u32_e64 s[0:1], s18, v6
	s_waitcnt lgkmcnt(0)
	v_add_f32_e32 v5, v4, v5
	v_cndmask_b32_e64 v4, v4, v5, s[0:1]
	v_cmp_gt_u32_e64 s[0:1], 8, v3
	v_cndmask_b32_e64 v5, 0, 1, s[0:1]
	v_lshlrev_b32_e32 v5, 3, v5
	v_add_lshl_u32 v2, v5, v2, 2
	ds_bpermute_b32 v2, v2, v4
	v_add_u32_e32 v3, 8, v3
	v_cmp_gt_u32_e64 s[0:1], s18, v3
	s_waitcnt lgkmcnt(0)
	v_add_f32_e32 v2, v4, v2
	v_cndmask_b32_e64 v2, v4, v2, s[0:1]
	v_cndmask_b32_e32 v1, v1, v2, vcc
.LBB43_29:
	s_or_b64 exec, exec, s[2:3]
	v_cmp_eq_u32_e32 vcc, 0, v0
	s_and_saveexec_b64 s[0:1], vcc
	s_cbranch_execz .LBB43_31
; %bb.30:
	v_cvt_f32_i32_e32 v2, s7
	s_load_dword s18, s[4:5], 0x40
	v_div_scale_f32 v3, s[2:3], v2, v2, v1
	v_rcp_f32_e32 v4, v3
	v_div_scale_f32 v5, vcc, v1, v2, v1
	s_mov_b32 s2, 0x800000
	v_fma_f32 v6, -v3, v4, 1.0
	v_fmac_f32_e32 v4, v6, v4
	v_mul_f32_e32 v6, v5, v4
	v_fma_f32 v7, -v3, v6, v5
	v_fmac_f32_e32 v6, v7, v4
	v_fma_f32 v3, -v3, v6, v5
	v_div_fmas_f32 v3, v3, v4, v6
	v_div_fixup_f32 v1, v3, v2, v1
	s_waitcnt lgkmcnt(0)
	v_add_f32_e32 v1, s18, v1
	v_mul_f32_e32 v2, 0x4b800000, v1
	v_cmp_gt_f32_e32 vcc, s2, v1
	v_cndmask_b32_e32 v1, v1, v2, vcc
	v_rsq_f32_e32 v1, v1
	v_mul_f32_e32 v2, 0x45800000, v1
	v_cndmask_b32_e32 v1, v1, v2, vcc
	v_mov_b32_e32 v2, 0
	ds_write_b32 v2, v1 offset:64
.LBB43_31:
	s_or_b64 exec, exec, s[0:1]
	s_lshr_b32 s0, s7, 31
	s_add_i32 s0, s7, s0
	s_ashr_i32 s29, s0, 1
	v_cmp_gt_i32_e32 vcc, s29, v0
	s_waitcnt lgkmcnt(0)
	s_barrier
	s_and_saveexec_b64 s[0:1], vcc
	s_cbranch_execz .LBB43_43
; %bb.32:
	v_cvt_f32_u32_e32 v1, s28
	v_add_u32_e32 v3, s28, v0
	v_mov_b32_e32 v5, s28
	v_cmp_gt_i32_e32 vcc, s29, v3
	v_rcp_iflag_f32_e32 v1, v1
	v_max_i32_e32 v4, s29, v3
	v_addc_co_u32_e64 v3, s[0:1], v0, v5, vcc
	v_mul_f32_e32 v1, 0x4f7ffffe, v1
	v_cvt_u32_f32_e32 v1, v1
	s_sub_i32 s0, 0, s28
	v_sub_u32_e32 v3, v4, v3
	v_mov_b32_e32 v2, 0
	v_mul_lo_u32 v4, s0, v1
	v_mul_hi_u32 v4, v1, v4
	v_add_u32_e32 v1, v1, v4
	v_mul_hi_u32 v1, v3, v1
	v_mul_lo_u32 v4, v1, s28
	v_sub_u32_e32 v3, v3, v4
	v_add_u32_e32 v4, 1, v1
	v_cmp_le_u32_e64 s[0:1], s28, v3
	v_cndmask_b32_e64 v1, v1, v4, s[0:1]
	v_subrev_u32_e32 v4, s28, v3
	v_cndmask_b32_e64 v3, v3, v4, s[0:1]
	s_load_dwordx2 s[18:19], s[4:5], 0x0
	s_load_dwordx2 s[20:21], s[4:5], 0x38
	ds_read_b32 v2, v2 offset:64
	v_add_u32_e32 v4, 1, v1
	v_cmp_le_u32_e64 s[0:1], s28, v3
	v_cndmask_b32_e64 v1, v1, v4, s[0:1]
	v_addc_co_u32_e32 v1, vcc, 1, v1, vcc
	s_cmp_lg_u32 s28, 1
	v_cmp_gt_u32_e32 vcc, 2, v1
	s_cselect_b64 s[0:1], -1, 0
	s_mul_i32 s6, s6, s7
	s_mov_b32 s7, 0
	s_or_b64 s[0:1], vcc, s[0:1]
	s_mov_b64 s[22:23], 0
	s_and_saveexec_b64 s[2:3], s[0:1]
	s_xor_b64 s[0:1], exec, s[2:3]
	s_cbranch_execnz .LBB43_37
; %bb.33:
	s_andn2_saveexec_b64 s[24:25], s[0:1]
	s_cbranch_execnz .LBB43_38
.LBB43_34:
	s_or_b64 exec, exec, s[24:25]
	s_and_b64 exec, exec, s[22:23]
	s_cbranch_execnz .LBB43_41
	s_branch .LBB43_43
.LBB43_35:
                                        ; implicit-def: $sgpr2_sgpr3
	s_branch .LBB43_2
.LBB43_36:
                                        ; implicit-def: $sgpr0_sgpr1
	s_branch .LBB43_5
.LBB43_37:
	s_mov_b64 s[22:23], exec
                                        ; implicit-def: $vgpr1
	s_andn2_saveexec_b64 s[24:25], s[0:1]
	s_cbranch_execz .LBB43_34
.LBB43_38:
	s_lshl_b64 s[0:1], s[6:7], 1
	s_waitcnt lgkmcnt(0)
	s_add_u32 s30, s18, s0
	s_addc_u32 s0, s19, s1
	v_and_b32_e32 v6, -2, v1
	v_mov_b32_e32 v3, v2
	s_mov_b64 s[26:27], 0
	v_mov_b32_e32 v5, 0
	v_mov_b32_e32 v7, s15
	v_mov_b32_e32 v8, s21
	s_movk_i32 s15, 0x7fff
	v_mov_b32_e32 v9, 0x7fc00000
	v_mov_b32_e32 v10, s0
	;; [unrolled: 1-line block ×5, first 2 shown]
.LBB43_39:                              ; =>This Inner Loop Header: Depth=1
	v_lshlrev_b64 v[14:15], 2, v[4:5]
	v_add_co_u32_e32 v16, vcc, s14, v14
	v_addc_co_u32_e32 v17, vcc, v7, v15, vcc
	v_add_co_u32_e32 v18, vcc, s20, v14
	v_addc_co_u32_e32 v19, vcc, v8, v15, vcc
	global_load_dwordx2 v[20:21], v[16:17], off
	global_load_dwordx2 v[22:23], v[18:19], off
	v_add_co_u32_e32 v14, vcc, s30, v14
	v_add_u32_e32 v12, -2, v12
	v_addc_co_u32_e32 v15, vcc, v10, v15, vcc
	v_cmp_eq_u32_e32 vcc, 0, v12
	s_or_b64 s[26:27], vcc, s[26:27]
	v_add_u32_e32 v4, 2, v4
	s_waitcnt vmcnt(1)
	v_and_b32_e32 v17, 0xffff0000, v21
	v_and_b32_e32 v16, 0xffff0000, v20
	v_lshlrev_b32_e32 v21, 16, v21
	v_lshlrev_b32_e32 v20, 16, v20
	v_pk_mul_f32 v[20:21], v[2:3], v[20:21]
	v_pk_mul_f32 v[16:17], v[2:3], v[16:17]
	v_bfe_u32 v13, v20, 16, 1
	v_bfe_u32 v24, v21, 16, 1
	;; [unrolled: 1-line block ×4, first 2 shown]
	v_add3_u32 v24, v21, v24, s15
	v_add3_u32 v13, v20, v13, s15
	;; [unrolled: 1-line block ×4, first 2 shown]
	v_and_b32_e32 v13, 0xffff0000, v13
	v_and_b32_e32 v24, 0xffff0000, v24
	v_cmp_o_f32_e32 vcc, v20, v20
	v_and_b32_e32 v20, 0xffff0000, v25
	v_and_b32_e32 v25, 0xffff0000, v26
	v_cmp_o_f32_e64 s[0:1], v17, v17
	v_cmp_o_f32_e64 s[2:3], v16, v16
	;; [unrolled: 1-line block ×3, first 2 shown]
	s_waitcnt vmcnt(0)
	v_and_b32_e32 v19, 0xffff0000, v23
	v_and_b32_e32 v18, 0xffff0000, v22
	v_lshlrev_b32_e32 v23, 16, v23
	v_lshlrev_b32_e32 v22, 16, v22
	v_cndmask_b32_e64 v17, v9, v24, s[4:5]
	v_cndmask_b32_e32 v16, v9, v13, vcc
	v_cndmask_b32_e64 v21, v9, v25, s[0:1]
	v_cndmask_b32_e64 v20, v9, v20, s[2:3]
	v_pk_mul_f32 v[16:17], v[16:17], v[22:23]
	v_pk_mul_f32 v[18:19], v[20:21], v[18:19]
	v_bfe_u32 v13, v17, 16, 1
	v_bfe_u32 v20, v16, 16, 1
	;; [unrolled: 1-line block ×4, first 2 shown]
	v_add3_u32 v20, v16, v20, s15
	v_add3_u32 v13, v17, v13, s15
	;; [unrolled: 1-line block ×4, first 2 shown]
	v_lshrrev_b32_e32 v13, 16, v13
	v_lshrrev_b32_e32 v20, 16, v20
	v_and_b32_e32 v21, 0xffff0000, v21
	v_and_b32_e32 v22, 0xffff0000, v22
	v_cmp_o_f32_e32 vcc, v19, v19
	v_cmp_o_f32_e64 s[0:1], v16, v16
	v_cmp_o_f32_e64 s[2:3], v17, v17
	;; [unrolled: 1-line block ×3, first 2 shown]
	v_cndmask_b32_e64 v16, v9, v22, s[4:5]
	v_cndmask_b32_e32 v17, v9, v21, vcc
	v_cndmask_b32_e64 v18, v11, v20, s[0:1]
	v_cndmask_b32_e64 v13, v11, v13, s[2:3]
	v_or_b32_e32 v17, v17, v13
	v_or_b32_e32 v16, v16, v18
	global_store_dwordx2 v[14:15], v[16:17], off
	s_andn2_b64 exec, exec, s[26:27]
	s_cbranch_execnz .LBB43_39
; %bb.40:
	s_or_b64 exec, exec, s[26:27]
	v_cmp_ne_u32_e32 vcc, v1, v6
	s_andn2_b64 s[0:1], s[22:23], exec
	s_and_b64 s[2:3], vcc, exec
	v_add_u32_e32 v0, v0, v6
	s_or_b64 s[22:23], s[0:1], s[2:3]
	s_or_b64 exec, exec, s[24:25]
	s_and_b64 exec, exec, s[22:23]
	s_cbranch_execz .LBB43_43
.LBB43_41:
	s_add_u32 s0, s8, s12
	s_addc_u32 s1, s9, s13
	s_add_u32 s0, s0, s10
	s_addc_u32 s1, s1, s11
	v_mov_b32_e32 v1, 0
	s_add_u32 s0, s16, s0
	v_lshlrev_b64 v[8:9], 2, v[0:1]
	s_addc_u32 s1, s17, s1
	v_mov_b32_e32 v4, s1
	v_add_co_u32_e32 v1, vcc, s0, v8
	v_addc_co_u32_e32 v4, vcc, v4, v9, vcc
	s_lshl_b32 s8, s28, 2
	s_lshl_b64 s[0:1], s[6:7], 1
	s_waitcnt lgkmcnt(0)
	v_mov_b32_e32 v6, s21
	v_add_co_u32_e32 v5, vcc, s20, v8
	s_add_u32 s0, s18, s0
	v_addc_co_u32_e32 v6, vcc, v6, v9, vcc
	s_addc_u32 s1, s19, s1
	v_mov_b32_e32 v10, s1
	v_add_co_u32_e32 v7, vcc, s0, v8
	v_mov_b32_e32 v3, v2
	v_addc_co_u32_e32 v8, vcc, v10, v9, vcc
	s_mov_b64 s[2:3], 0
	s_movk_i32 s6, 0x7fff
	v_mov_b32_e32 v9, 0x7fc00000
	v_mov_b32_e32 v10, 0x7fc0
	s_mov_b64 s[4:5], 0
.LBB43_42:                              ; =>This Inner Loop Header: Depth=1
	v_mov_b32_e32 v11, s5
	v_add_co_u32_e64 v14, s[0:1], s4, v1
	v_add_co_u32_e32 v12, vcc, s4, v5
	v_addc_co_u32_e64 v15, s[0:1], v4, v11, s[0:1]
	v_addc_co_u32_e32 v13, vcc, v6, v11, vcc
	global_load_dword v17, v[14:15], off
	global_load_dword v18, v[12:13], off
	v_add_co_u32_e32 v12, vcc, s4, v7
	v_add_u32_e32 v0, s28, v0
	s_add_u32 s4, s4, s8
	v_addc_co_u32_e32 v13, vcc, v8, v11, vcc
	s_addc_u32 s5, s5, 0
	v_cmp_le_i32_e32 vcc, s29, v0
	s_or_b64 s[2:3], vcc, s[2:3]
	s_waitcnt vmcnt(1)
	v_and_b32_e32 v14, 0xffff0000, v17
	v_lshlrev_b32_e32 v15, 16, v17
	v_pk_mul_f32 v[14:15], v[2:3], v[14:15]
	s_waitcnt vmcnt(0)
	v_and_b32_e32 v16, 0xffff0000, v18
	v_lshlrev_b32_e32 v17, 16, v18
	v_bfe_u32 v11, v14, 16, 1
	v_bfe_u32 v18, v15, 16, 1
	v_add3_u32 v18, v15, v18, s6
	v_add3_u32 v11, v14, v11, s6
	v_and_b32_e32 v11, 0xffff0000, v11
	v_and_b32_e32 v18, 0xffff0000, v18
	v_cmp_o_f32_e32 vcc, v14, v14
	v_cmp_o_f32_e64 s[0:1], v15, v15
	v_cndmask_b32_e64 v15, v9, v18, s[0:1]
	v_cndmask_b32_e32 v14, v9, v11, vcc
	v_pk_mul_f32 v[14:15], v[14:15], v[16:17]
	v_bfe_u32 v11, v14, 16, 1
	v_bfe_u32 v16, v15, 16, 1
	v_add3_u32 v16, v15, v16, s6
	v_add3_u32 v11, v14, v11, s6
	v_and_b32_e32 v11, 0xffff0000, v11
	v_lshrrev_b32_e32 v16, 16, v16
	v_cmp_o_f32_e32 vcc, v14, v14
	v_cmp_o_f32_e64 s[0:1], v15, v15
	v_cndmask_b32_e64 v14, v10, v16, s[0:1]
	v_cndmask_b32_e32 v11, v9, v11, vcc
	v_or_b32_e32 v11, v11, v14
	global_store_dword v[12:13], v11, off
	s_andn2_b64 exec, exec, s[2:3]
	s_cbranch_execnz .LBB43_42
.LBB43_43:
	s_endpgm
	.section	.rodata,"a",@progbits
	.p2align	6, 0x0
	.amdhsa_kernel _ZN4vllm15rms_norm_kernelIN3c108BFloat16ELi2ELi4EEEvPT_PKS3_lllllS6_fii
		.amdhsa_group_segment_fixed_size 68
		.amdhsa_private_segment_fixed_size 0
		.amdhsa_kernarg_size 336
		.amdhsa_user_sgpr_count 6
		.amdhsa_user_sgpr_private_segment_buffer 1
		.amdhsa_user_sgpr_dispatch_ptr 0
		.amdhsa_user_sgpr_queue_ptr 0
		.amdhsa_user_sgpr_kernarg_segment_ptr 1
		.amdhsa_user_sgpr_dispatch_id 0
		.amdhsa_user_sgpr_flat_scratch_init 0
		.amdhsa_user_sgpr_kernarg_preload_length 0
		.amdhsa_user_sgpr_kernarg_preload_offset 0
		.amdhsa_user_sgpr_private_segment_size 0
		.amdhsa_uses_dynamic_stack 0
		.amdhsa_system_sgpr_private_segment_wavefront_offset 0
		.amdhsa_system_sgpr_workgroup_id_x 1
		.amdhsa_system_sgpr_workgroup_id_y 0
		.amdhsa_system_sgpr_workgroup_id_z 0
		.amdhsa_system_sgpr_workgroup_info 0
		.amdhsa_system_vgpr_workitem_id 0
		.amdhsa_next_free_vgpr 27
		.amdhsa_next_free_sgpr 35
		.amdhsa_accum_offset 28
		.amdhsa_reserve_vcc 1
		.amdhsa_reserve_flat_scratch 0
		.amdhsa_float_round_mode_32 0
		.amdhsa_float_round_mode_16_64 0
		.amdhsa_float_denorm_mode_32 3
		.amdhsa_float_denorm_mode_16_64 3
		.amdhsa_dx10_clamp 1
		.amdhsa_ieee_mode 1
		.amdhsa_fp16_overflow 0
		.amdhsa_tg_split 0
		.amdhsa_exception_fp_ieee_invalid_op 0
		.amdhsa_exception_fp_denorm_src 0
		.amdhsa_exception_fp_ieee_div_zero 0
		.amdhsa_exception_fp_ieee_overflow 0
		.amdhsa_exception_fp_ieee_underflow 0
		.amdhsa_exception_fp_ieee_inexact 0
		.amdhsa_exception_int_div_zero 0
	.end_amdhsa_kernel
	.section	.text._ZN4vllm15rms_norm_kernelIN3c108BFloat16ELi2ELi4EEEvPT_PKS3_lllllS6_fii,"axG",@progbits,_ZN4vllm15rms_norm_kernelIN3c108BFloat16ELi2ELi4EEEvPT_PKS3_lllllS6_fii,comdat
.Lfunc_end43:
	.size	_ZN4vllm15rms_norm_kernelIN3c108BFloat16ELi2ELi4EEEvPT_PKS3_lllllS6_fii, .Lfunc_end43-_ZN4vllm15rms_norm_kernelIN3c108BFloat16ELi2ELi4EEEvPT_PKS3_lllllS6_fii
                                        ; -- End function
	.section	.AMDGPU.csdata,"",@progbits
; Kernel info:
; codeLenInByte = 4248
; NumSgprs: 39
; NumVgprs: 27
; NumAgprs: 0
; TotalNumVgprs: 27
; ScratchSize: 0
; MemoryBound: 0
; FloatMode: 240
; IeeeMode: 1
; LDSByteSize: 68 bytes/workgroup (compile time only)
; SGPRBlocks: 4
; VGPRBlocks: 3
; NumSGPRsForWavesPerEU: 39
; NumVGPRsForWavesPerEU: 27
; AccumOffset: 28
; Occupancy: 8
; WaveLimiterHint : 0
; COMPUTE_PGM_RSRC2:SCRATCH_EN: 0
; COMPUTE_PGM_RSRC2:USER_SGPR: 6
; COMPUTE_PGM_RSRC2:TRAP_HANDLER: 0
; COMPUTE_PGM_RSRC2:TGID_X_EN: 1
; COMPUTE_PGM_RSRC2:TGID_Y_EN: 0
; COMPUTE_PGM_RSRC2:TGID_Z_EN: 0
; COMPUTE_PGM_RSRC2:TIDIG_COMP_CNT: 0
; COMPUTE_PGM_RSRC3_GFX90A:ACCUM_OFFSET: 6
; COMPUTE_PGM_RSRC3_GFX90A:TG_SPLIT: 0
	.section	.text._ZN4vllm15rms_norm_kernelIN3c108BFloat16ELi1ELi4EEEvPT_PKS3_lllllS6_fii,"axG",@progbits,_ZN4vllm15rms_norm_kernelIN3c108BFloat16ELi1ELi4EEEvPT_PKS3_lllllS6_fii,comdat
	.protected	_ZN4vllm15rms_norm_kernelIN3c108BFloat16ELi1ELi4EEEvPT_PKS3_lllllS6_fii ; -- Begin function _ZN4vllm15rms_norm_kernelIN3c108BFloat16ELi1ELi4EEEvPT_PKS3_lllllS6_fii
	.globl	_ZN4vllm15rms_norm_kernelIN3c108BFloat16ELi1ELi4EEEvPT_PKS3_lllllS6_fii
	.p2align	8
	.type	_ZN4vllm15rms_norm_kernelIN3c108BFloat16ELi1ELi4EEEvPT_PKS3_lllllS6_fii,@function
_ZN4vllm15rms_norm_kernelIN3c108BFloat16ELi1ELi4EEEvPT_PKS3_lllllS6_fii: ; @_ZN4vllm15rms_norm_kernelIN3c108BFloat16ELi1ELi4EEEvPT_PKS3_lllllS6_fii
; %bb.0:
	s_load_dwordx8 s[8:15], s[4:5], 0x10
	s_load_dwordx2 s[2:3], s[4:5], 0x30
	s_mov_b32 s0, 0
	s_waitcnt lgkmcnt(0)
	s_mul_i32 s1, s2, s15
	s_mul_hi_u32 s7, s2, s14
	s_add_i32 s1, s7, s1
	s_mul_i32 s3, s3, s14
	s_add_i32 s1, s1, s3
	s_cmp_lg_u64 s[0:1], 0
	s_mul_i32 s7, s2, s14
	s_cbranch_scc0 .LBB44_28
; %bb.1:
	s_ashr_i32 s2, s1, 31
	s_add_u32 s0, s7, s2
	s_mov_b32 s3, s2
	s_addc_u32 s1, s1, s2
	s_xor_b64 s[16:17], s[0:1], s[2:3]
	v_cvt_f32_u32_e32 v1, s16
	v_cvt_f32_u32_e32 v2, s17
	s_sub_u32 s0, 0, s16
	s_subb_u32 s1, 0, s17
	v_madmk_f32 v1, v2, 0x4f800000, v1
	v_rcp_f32_e32 v1, v1
	v_mul_f32_e32 v1, 0x5f7ffffc, v1
	v_mul_f32_e32 v2, 0x2f800000, v1
	v_trunc_f32_e32 v2, v2
	v_madmk_f32 v1, v2, 0xcf800000, v1
	v_cvt_u32_f32_e32 v2, v2
	v_cvt_u32_f32_e32 v1, v1
	v_readfirstlane_b32 s20, v2
	v_readfirstlane_b32 s21, v1
	s_mul_i32 s22, s0, s20
	s_mul_hi_u32 s24, s0, s21
	s_mul_i32 s23, s1, s21
	s_add_i32 s22, s24, s22
	s_add_i32 s22, s22, s23
	s_mul_i32 s25, s0, s21
	s_mul_hi_u32 s23, s21, s22
	s_mul_i32 s24, s21, s22
	s_mul_hi_u32 s21, s21, s25
	s_add_u32 s21, s21, s24
	s_addc_u32 s23, 0, s23
	s_mul_hi_u32 s26, s20, s25
	s_mul_i32 s25, s20, s25
	s_add_u32 s21, s21, s25
	s_mul_hi_u32 s24, s20, s22
	s_addc_u32 s21, s23, s26
	s_addc_u32 s23, s24, 0
	s_mul_i32 s22, s20, s22
	s_add_u32 s21, s21, s22
	s_addc_u32 s22, 0, s23
	v_add_co_u32_e32 v1, vcc, s21, v1
	s_cmp_lg_u64 vcc, 0
	s_addc_u32 s20, s20, s22
	v_readfirstlane_b32 s22, v1
	s_mul_i32 s21, s0, s20
	s_mul_hi_u32 s23, s0, s22
	s_add_i32 s21, s23, s21
	s_mul_i32 s1, s1, s22
	s_add_i32 s21, s21, s1
	s_mul_i32 s0, s0, s22
	s_mul_hi_u32 s23, s20, s0
	s_mul_i32 s24, s20, s0
	s_mul_i32 s26, s22, s21
	s_mul_hi_u32 s0, s22, s0
	s_mul_hi_u32 s25, s22, s21
	s_add_u32 s0, s0, s26
	s_addc_u32 s22, 0, s25
	s_add_u32 s0, s0, s24
	s_mul_hi_u32 s1, s20, s21
	s_addc_u32 s0, s22, s23
	s_addc_u32 s1, s1, 0
	s_mul_i32 s21, s20, s21
	s_add_u32 s0, s0, s21
	s_addc_u32 s1, 0, s1
	v_add_co_u32_e32 v1, vcc, s0, v1
	s_cmp_lg_u64 vcc, 0
	s_addc_u32 s0, s20, s1
	v_readfirstlane_b32 s20, v1
	s_mul_hi_u32 s1, s6, s0
	s_mul_i32 s0, s6, s0
	s_mul_hi_u32 s20, s6, s20
	s_add_u32 s0, s20, s0
	s_addc_u32 s1, 0, s1
	s_add_u32 s0, s0, 0
	s_addc_u32 s0, s1, 0
	s_addc_u32 s1, 0, 0
	s_add_u32 s20, s0, 0
	s_addc_u32 s21, 0, s1
	s_mul_i32 s0, s16, s21
	s_mul_hi_u32 s1, s16, s20
	s_add_i32 s0, s1, s0
	s_mul_i32 s1, s17, s20
	s_add_i32 s22, s0, s1
	s_mul_i32 s1, s16, s20
	v_mov_b32_e32 v1, s1
	s_sub_i32 s0, 0, s22
	v_sub_co_u32_e32 v1, vcc, s6, v1
	s_cmp_lg_u64 vcc, 0
	s_subb_u32 s23, s0, s17
	v_subrev_co_u32_e64 v2, s[0:1], s16, v1
	s_cmp_lg_u64 s[0:1], 0
	s_subb_u32 s0, s23, 0
	s_cmp_ge_u32 s0, s17
	v_readfirstlane_b32 s23, v2
	s_cselect_b32 s1, -1, 0
	s_cmp_ge_u32 s23, s16
	s_cselect_b32 s23, -1, 0
	s_cmp_eq_u32 s0, s17
	s_cselect_b32 s0, s23, s1
	s_add_u32 s1, s20, 1
	s_addc_u32 s23, s21, 0
	s_add_u32 s24, s20, 2
	s_addc_u32 s25, s21, 0
	s_cmp_lg_u32 s0, 0
	s_cselect_b32 s0, s24, s1
	s_cselect_b32 s1, s25, s23
	s_cmp_lg_u64 vcc, 0
	s_subb_u32 s22, 0, s22
	s_cmp_ge_u32 s22, s17
	v_readfirstlane_b32 s24, v1
	s_cselect_b32 s23, -1, 0
	s_cmp_ge_u32 s24, s16
	s_cselect_b32 s16, -1, 0
	s_cmp_eq_u32 s22, s17
	s_cselect_b32 s16, s16, s23
	s_cmp_lg_u32 s16, 0
	s_cselect_b32 s1, s1, s21
	s_cselect_b32 s0, s0, s20
	s_xor_b64 s[0:1], s[0:1], s[2:3]
	s_sub_u32 s16, s0, s2
	s_subb_u32 s17, s1, s2
	s_cbranch_execnz .LBB44_3
.LBB44_2:
	v_cvt_f32_u32_e32 v1, s7
	s_sub_i32 s0, 0, s7
	s_mov_b32 s17, 0
	v_rcp_iflag_f32_e32 v1, v1
	v_mul_f32_e32 v1, 0x4f7ffffe, v1
	v_cvt_u32_f32_e32 v1, v1
	v_readfirstlane_b32 s1, v1
	s_mul_i32 s0, s0, s1
	s_mul_hi_u32 s0, s1, s0
	s_add_i32 s1, s1, s0
	s_mul_hi_u32 s0, s6, s1
	s_mul_i32 s2, s0, s7
	s_sub_i32 s2, s6, s2
	s_add_i32 s1, s0, 1
	s_sub_i32 s3, s2, s7
	s_cmp_ge_u32 s2, s7
	s_cselect_b32 s0, s1, s0
	s_cselect_b32 s2, s3, s2
	s_add_i32 s1, s0, 1
	s_cmp_ge_u32 s2, s7
	s_cselect_b32 s16, s1, s0
.LBB44_3:
	s_mul_i32 s0, s16, s7
	s_load_dwordx2 s[2:3], s[4:5], 0x8
	s_sub_i32 s18, s6, s0
	s_ashr_i32 s19, s18, 31
	s_or_b64 s[0:1], s[18:19], s[14:15]
	s_mov_b32 s0, 0
	s_cmp_lg_u64 s[0:1], 0
	s_cbranch_scc0 .LBB44_29
; %bb.4:
	s_ashr_i32 s20, s15, 31
	s_add_u32 s0, s14, s20
	s_mov_b32 s21, s20
	s_addc_u32 s1, s15, s20
	s_xor_b64 s[24:25], s[0:1], s[20:21]
	v_cvt_f32_u32_e32 v1, s24
	v_cvt_f32_u32_e32 v2, s25
	s_sub_u32 s0, 0, s24
	s_subb_u32 s1, 0, s25
	v_madmk_f32 v1, v2, 0x4f800000, v1
	v_rcp_f32_e32 v1, v1
	v_mul_f32_e32 v1, 0x5f7ffffc, v1
	v_mul_f32_e32 v2, 0x2f800000, v1
	v_trunc_f32_e32 v2, v2
	v_madmk_f32 v1, v2, 0xcf800000, v1
	v_cvt_u32_f32_e32 v2, v2
	v_cvt_u32_f32_e32 v1, v1
	v_readfirstlane_b32 s7, v2
	v_readfirstlane_b32 s26, v1
	s_mul_i32 s27, s0, s7
	s_mul_hi_u32 s29, s0, s26
	s_mul_i32 s28, s1, s26
	s_add_i32 s27, s29, s27
	s_add_i32 s27, s27, s28
	s_mul_i32 s30, s0, s26
	s_mul_hi_u32 s28, s26, s27
	s_mul_i32 s29, s26, s27
	s_mul_hi_u32 s26, s26, s30
	s_add_u32 s26, s26, s29
	s_addc_u32 s28, 0, s28
	s_mul_hi_u32 s31, s7, s30
	s_mul_i32 s30, s7, s30
	s_add_u32 s26, s26, s30
	s_mul_hi_u32 s29, s7, s27
	s_addc_u32 s26, s28, s31
	s_addc_u32 s28, s29, 0
	s_mul_i32 s27, s7, s27
	s_add_u32 s26, s26, s27
	s_addc_u32 s27, 0, s28
	v_add_co_u32_e32 v1, vcc, s26, v1
	s_cmp_lg_u64 vcc, 0
	s_addc_u32 s7, s7, s27
	v_readfirstlane_b32 s27, v1
	s_mul_i32 s26, s0, s7
	s_mul_hi_u32 s28, s0, s27
	s_add_i32 s26, s28, s26
	s_mul_i32 s1, s1, s27
	s_add_i32 s26, s26, s1
	s_mul_i32 s0, s0, s27
	s_mul_hi_u32 s28, s7, s0
	s_mul_i32 s29, s7, s0
	s_mul_i32 s31, s27, s26
	s_mul_hi_u32 s0, s27, s0
	s_mul_hi_u32 s30, s27, s26
	s_add_u32 s0, s0, s31
	s_addc_u32 s27, 0, s30
	s_add_u32 s0, s0, s29
	s_mul_hi_u32 s1, s7, s26
	s_addc_u32 s0, s27, s28
	s_addc_u32 s1, s1, 0
	s_mul_i32 s26, s7, s26
	s_add_u32 s0, s0, s26
	s_addc_u32 s1, 0, s1
	v_add_co_u32_e32 v1, vcc, s0, v1
	s_cmp_lg_u64 vcc, 0
	s_addc_u32 s7, s7, s1
	s_add_u32 s0, s18, s19
	s_mov_b32 s26, s19
	s_mov_b32 s27, s19
	s_addc_u32 s1, s19, s19
	s_xor_b64 s[28:29], s[0:1], s[26:27]
	v_readfirstlane_b32 s30, v1
	s_mul_i32 s1, s28, s7
	s_mul_hi_u32 s31, s28, s30
	s_mul_hi_u32 s0, s28, s7
	s_add_u32 s1, s31, s1
	s_addc_u32 s0, 0, s0
	s_mul_hi_u32 s33, s29, s30
	s_mul_i32 s30, s29, s30
	s_add_u32 s1, s1, s30
	s_mul_hi_u32 s31, s29, s7
	s_addc_u32 s0, s0, s33
	s_addc_u32 s1, s31, 0
	s_mul_i32 s7, s29, s7
	s_add_u32 s7, s0, s7
	s_addc_u32 s30, 0, s1
	s_mul_i32 s0, s24, s30
	s_mul_hi_u32 s1, s24, s7
	s_add_i32 s0, s1, s0
	s_mul_i32 s1, s25, s7
	s_add_i32 s31, s0, s1
	s_mul_i32 s1, s24, s7
	v_mov_b32_e32 v1, s1
	s_sub_i32 s0, s29, s31
	v_sub_co_u32_e32 v1, vcc, s28, v1
	s_cmp_lg_u64 vcc, 0
	s_subb_u32 s28, s0, s25
	v_subrev_co_u32_e64 v2, s[0:1], s24, v1
	s_cmp_lg_u64 s[0:1], 0
	s_subb_u32 s0, s28, 0
	s_cmp_ge_u32 s0, s25
	v_readfirstlane_b32 s28, v2
	s_cselect_b32 s1, -1, 0
	s_cmp_ge_u32 s28, s24
	s_cselect_b32 s28, -1, 0
	s_cmp_eq_u32 s0, s25
	s_cselect_b32 s0, s28, s1
	s_add_u32 s1, s7, 1
	s_addc_u32 s28, s30, 0
	s_add_u32 s33, s7, 2
	s_addc_u32 s34, s30, 0
	s_cmp_lg_u32 s0, 0
	s_cselect_b32 s0, s33, s1
	s_cselect_b32 s1, s34, s28
	s_cmp_lg_u64 vcc, 0
	s_subb_u32 s28, s29, s31
	s_cmp_ge_u32 s28, s25
	v_readfirstlane_b32 s31, v1
	s_cselect_b32 s29, -1, 0
	s_cmp_ge_u32 s31, s24
	s_cselect_b32 s24, -1, 0
	s_cmp_eq_u32 s28, s25
	s_cselect_b32 s24, s24, s29
	s_cmp_lg_u32 s24, 0
	s_cselect_b32 s1, s1, s30
	s_cselect_b32 s0, s0, s7
	s_xor_b64 s[20:21], s[26:27], s[20:21]
	s_xor_b64 s[0:1], s[0:1], s[20:21]
	s_sub_u32 s0, s0, s20
	s_subb_u32 s1, s1, s21
	s_cbranch_execnz .LBB44_6
.LBB44_5:
	v_cvt_f32_u32_e32 v1, s14
	s_sub_i32 s0, 0, s14
	s_mov_b32 s1, 0
	v_rcp_iflag_f32_e32 v1, v1
	v_mul_f32_e32 v1, 0x4f7ffffe, v1
	v_cvt_u32_f32_e32 v1, v1
	v_readfirstlane_b32 s7, v1
	s_mul_i32 s0, s0, s7
	s_mul_hi_u32 s0, s7, s0
	s_add_i32 s7, s7, s0
	s_mul_hi_u32 s0, s18, s7
	s_mul_i32 s20, s0, s14
	s_sub_i32 s20, s18, s20
	s_add_i32 s7, s0, 1
	s_sub_i32 s21, s20, s14
	s_cmp_ge_u32 s20, s14
	s_cselect_b32 s0, s7, s0
	s_cselect_b32 s20, s21, s20
	s_add_i32 s7, s0, 1
	s_cmp_ge_u32 s20, s14
	s_cselect_b32 s0, s7, s0
.LBB44_6:
	s_mul_i32 s7, s0, s15
	s_mul_hi_u32 s15, s0, s14
	s_add_i32 s7, s15, s7
	s_mul_i32 s15, s1, s14
	s_add_i32 s7, s7, s15
	s_mul_i32 s14, s0, s14
	s_sub_u32 s18, s18, s14
	s_subb_u32 s7, s19, s7
	s_bfe_i64 s[14:15], s[16:17], 0x200000
	s_mul_i32 s13, s16, s13
	s_mul_hi_u32 s14, s16, s12
	s_add_i32 s13, s14, s13
	s_mul_i32 s14, s15, s12
	s_add_i32 s13, s13, s14
	s_mul_i32 s12, s16, s12
	s_lshl_b64 s[12:13], s[12:13], 1
	s_waitcnt lgkmcnt(0)
	s_add_u32 s16, s2, s12
	s_addc_u32 s17, s3, s13
	s_bfe_i64 s[14:15], s[0:1], 0x200000
	s_mul_i32 s1, s0, s11
	s_mul_hi_u32 s11, s0, s10
	s_add_i32 s1, s11, s1
	s_mul_i32 s11, s15, s10
	s_add_i32 s1, s1, s11
	s_mul_i32 s0, s0, s10
	s_lshl_b64 s[10:11], s[0:1], 1
	s_add_u32 s14, s16, s10
	s_mul_i32 s0, s18, s9
	s_mul_hi_u32 s1, s18, s8
	s_addc_u32 s15, s17, s11
	s_add_i32 s0, s1, s0
	s_mul_i32 s7, s7, s8
	s_add_i32 s1, s0, s7
	s_load_dword s7, s[4:5], 0x48
	s_load_dword s17, s[4:5], 0x5c
	s_mul_i32 s0, s18, s8
	s_lshl_b64 s[8:9], s[0:1], 1
	s_add_u32 s16, s14, s8
	s_addc_u32 s18, s15, s9
	s_waitcnt lgkmcnt(0)
	s_and_b32 s17, s17, 0xffff
	s_bitcmp1_b32 s16, 0
	s_cselect_b64 s[0:1], -1, 0
	s_and_b64 vcc, exec, s[0:1]
	s_cbranch_vccz .LBB44_12
; %bb.7:
	s_min_i32 s14, s7, 0
	s_sub_i32 s19, s7, s14
	s_mov_b32 s20, 0
	v_cmp_gt_i32_e32 vcc, s19, v0
	v_mov_b32_e32 v4, 0
	s_and_saveexec_b64 s[0:1], vcc
	s_cbranch_execz .LBB44_11
; %bb.8:
	s_ashr_i32 s15, s14, 31
	s_add_u32 s21, s8, s12
	s_addc_u32 s22, s9, s13
	s_add_u32 s21, s21, s10
	s_addc_u32 s22, s22, s11
	s_lshl_b64 s[14:15], s[14:15], 1
	s_add_u32 s14, s21, s14
	s_addc_u32 s15, s22, s15
	s_add_u32 s14, s2, s14
	v_lshlrev_b32_e32 v1, 1, v0
	s_addc_u32 s15, s3, s15
	v_mov_b32_e32 v3, s15
	v_add_co_u32_e32 v2, vcc, s14, v1
	v_addc_co_u32_e32 v3, vcc, 0, v3, vcc
	s_lshl_b32 s21, s17, 1
	s_mov_b64 s[14:15], 0
	v_mov_b32_e32 v4, 0
	v_mov_b32_e32 v1, s20
	;; [unrolled: 1-line block ×3, first 2 shown]
.LBB44_9:                               ; =>This Inner Loop Header: Depth=1
	global_load_ushort v6, v[2:3], off
	v_add_co_u32_e32 v2, vcc, s21, v2
	v_add_u32_e32 v5, s17, v5
	v_addc_co_u32_e32 v3, vcc, v3, v1, vcc
	v_cmp_le_i32_e32 vcc, s19, v5
	s_or_b64 s[14:15], vcc, s[14:15]
	s_waitcnt vmcnt(0)
	v_lshlrev_b32_e32 v6, 16, v6
	v_fmac_f32_e32 v4, v6, v6
	s_andn2_b64 exec, exec, s[14:15]
	s_cbranch_execnz .LBB44_9
; %bb.10:
	s_or_b64 exec, exec, s[14:15]
.LBB44_11:
	s_or_b64 exec, exec, s[0:1]
	v_cmp_gt_i32_e64 s[0:1], s7, v0
	s_cbranch_execz .LBB44_13
	s_branch .LBB44_18
.LBB44_12:
                                        ; implicit-def: $vgpr4
	v_cmp_gt_i32_e64 s[0:1], s7, v0
.LBB44_13:
	v_mov_b32_e32 v4, 0
	s_and_saveexec_b64 s[14:15], s[0:1]
	s_cbranch_execz .LBB44_17
; %bb.14:
	s_add_u32 s0, s8, s12
	s_addc_u32 s1, s9, s13
	s_add_u32 s0, s0, s10
	s_addc_u32 s1, s1, s11
	s_add_u32 s0, s2, s0
	v_lshlrev_b32_e32 v1, 1, v0
	s_addc_u32 s1, s3, s1
	s_mov_b32 s8, 0
	v_mov_b32_e32 v3, s1
	v_add_co_u32_e32 v2, vcc, s0, v1
	v_addc_co_u32_e32 v3, vcc, 0, v3, vcc
	s_lshl_b32 s2, s17, 1
	s_mov_b64 s[0:1], 0
	v_mov_b32_e32 v4, 0
	v_mov_b32_e32 v1, s8
	;; [unrolled: 1-line block ×3, first 2 shown]
.LBB44_15:                              ; =>This Inner Loop Header: Depth=1
	global_load_ushort v6, v[2:3], off
	v_add_co_u32_e32 v2, vcc, s2, v2
	v_add_u32_e32 v5, s17, v5
	v_addc_co_u32_e32 v3, vcc, v3, v1, vcc
	v_cmp_le_i32_e32 vcc, s7, v5
	s_or_b64 s[0:1], vcc, s[0:1]
	s_waitcnt vmcnt(0)
	v_lshlrev_b32_e32 v6, 16, v6
	v_fmac_f32_e32 v4, v6, v6
	s_andn2_b64 exec, exec, s[0:1]
	s_cbranch_execnz .LBB44_15
; %bb.16:
	s_or_b64 exec, exec, s[0:1]
.LBB44_17:
	s_or_b64 exec, exec, s[14:15]
.LBB44_18:
	v_mbcnt_lo_u32_b32 v1, -1, 0
	v_mbcnt_hi_u32_b32 v1, -1, v1
	v_and_b32_e32 v2, 63, v1
	v_cmp_ne_u32_e32 vcc, 63, v2
	v_addc_co_u32_e32 v3, vcc, 0, v1, vcc
	v_lshlrev_b32_e32 v3, 2, v3
	ds_bpermute_b32 v3, v3, v4
	v_and_b32_e32 v5, 0x3c0, v0
	v_sub_u32_e64 v5, s17, v5 clamp
	v_add_u32_e32 v6, 1, v1
	v_cmp_lt_u32_e32 vcc, v6, v5
	s_waitcnt lgkmcnt(0)
	v_add_f32_e32 v3, v4, v3
	v_cndmask_b32_e32 v3, v4, v3, vcc
	v_cmp_gt_u32_e32 vcc, 62, v2
	v_cndmask_b32_e64 v4, 0, 1, vcc
	v_lshlrev_b32_e32 v4, 1, v4
	v_add_lshl_u32 v4, v4, v1, 2
	ds_bpermute_b32 v4, v4, v3
	v_add_u32_e32 v6, 2, v1
	v_cmp_lt_u32_e32 vcc, v6, v5
	v_add_u32_e32 v6, 4, v1
	s_waitcnt lgkmcnt(0)
	v_add_f32_e32 v4, v3, v4
	v_cndmask_b32_e32 v3, v3, v4, vcc
	v_cmp_gt_u32_e32 vcc, 60, v2
	v_cndmask_b32_e64 v4, 0, 1, vcc
	v_lshlrev_b32_e32 v4, 2, v4
	v_add_lshl_u32 v4, v4, v1, 2
	ds_bpermute_b32 v4, v4, v3
	v_cmp_lt_u32_e32 vcc, v6, v5
	v_add_u32_e32 v6, 8, v1
	s_waitcnt lgkmcnt(0)
	v_add_f32_e32 v4, v3, v4
	v_cndmask_b32_e32 v3, v3, v4, vcc
	v_cmp_gt_u32_e32 vcc, 56, v2
	v_cndmask_b32_e64 v4, 0, 1, vcc
	v_lshlrev_b32_e32 v4, 3, v4
	v_add_lshl_u32 v4, v4, v1, 2
	ds_bpermute_b32 v4, v4, v3
	;; [unrolled: 10-line block ×3, first 2 shown]
	v_cmp_lt_u32_e32 vcc, v6, v5
	s_waitcnt lgkmcnt(0)
	v_add_f32_e32 v4, v3, v4
	v_cndmask_b32_e32 v3, v3, v4, vcc
	v_cmp_gt_u32_e32 vcc, 32, v2
	v_cndmask_b32_e64 v2, 0, 1, vcc
	v_lshlrev_b32_e32 v2, 5, v2
	v_add_lshl_u32 v2, v2, v1, 2
	ds_bpermute_b32 v2, v2, v3
	v_add_u32_e32 v4, 32, v1
	v_cmp_lt_u32_e32 vcc, v4, v5
	s_waitcnt lgkmcnt(0)
	v_add_f32_e32 v2, v3, v2
	v_cndmask_b32_e32 v2, v3, v2, vcc
	v_cmp_eq_u32_e32 vcc, 0, v1
	s_and_saveexec_b64 s[0:1], vcc
	s_cbranch_execz .LBB44_20
; %bb.19:
	v_lshrrev_b32_e32 v3, 4, v0
	v_and_b32_e32 v3, 60, v3
	ds_write_b32 v3, v2
.LBB44_20:
	s_or_b64 exec, exec, s[0:1]
	v_cmp_gt_u32_e32 vcc, 16, v0
	s_waitcnt lgkmcnt(0)
	s_barrier
	s_and_saveexec_b64 s[2:3], vcc
	s_cbranch_execz .LBB44_22
; %bb.21:
	v_lshlrev_b32_e32 v2, 2, v1
	ds_read_b32 v2, v2
	v_and_b32_e32 v3, 15, v1
	v_cmp_ne_u32_e32 vcc, 15, v3
	v_addc_co_u32_e32 v4, vcc, 0, v1, vcc
	v_lshlrev_b32_e32 v4, 2, v4
	s_waitcnt lgkmcnt(0)
	ds_bpermute_b32 v4, v4, v2
	s_add_i32 s0, s17, 63
	s_lshr_b32 s8, s0, 6
	v_add_u32_e32 v5, 1, v3
	v_cmp_gt_u32_e64 s[0:1], 14, v3
	v_cmp_gt_u32_e32 vcc, s8, v5
	v_cndmask_b32_e64 v5, 0, 1, s[0:1]
	s_waitcnt lgkmcnt(0)
	v_add_f32_e32 v4, v2, v4
	v_lshlrev_b32_e32 v5, 1, v5
	v_cndmask_b32_e32 v4, v2, v4, vcc
	v_add_lshl_u32 v5, v5, v1, 2
	ds_bpermute_b32 v5, v5, v4
	v_add_u32_e32 v6, 2, v3
	v_cmp_gt_u32_e64 s[0:1], s8, v6
	v_add_u32_e32 v6, 4, v3
	s_waitcnt lgkmcnt(0)
	v_add_f32_e32 v5, v4, v5
	v_cndmask_b32_e64 v4, v4, v5, s[0:1]
	v_cmp_gt_u32_e64 s[0:1], 12, v3
	v_cndmask_b32_e64 v5, 0, 1, s[0:1]
	v_lshlrev_b32_e32 v5, 2, v5
	v_add_lshl_u32 v5, v5, v1, 2
	ds_bpermute_b32 v5, v5, v4
	v_cmp_gt_u32_e64 s[0:1], s8, v6
	s_waitcnt lgkmcnt(0)
	v_add_f32_e32 v5, v4, v5
	v_cndmask_b32_e64 v4, v4, v5, s[0:1]
	v_cmp_gt_u32_e64 s[0:1], 8, v3
	v_cndmask_b32_e64 v5, 0, 1, s[0:1]
	v_lshlrev_b32_e32 v5, 3, v5
	v_add_lshl_u32 v1, v5, v1, 2
	ds_bpermute_b32 v1, v1, v4
	v_add_u32_e32 v3, 8, v3
	v_cmp_gt_u32_e64 s[0:1], s8, v3
	s_waitcnt lgkmcnt(0)
	v_add_f32_e32 v1, v4, v1
	v_cndmask_b32_e64 v1, v4, v1, s[0:1]
	v_cndmask_b32_e32 v2, v2, v1, vcc
.LBB44_22:
	s_or_b64 exec, exec, s[2:3]
	v_cmp_eq_u32_e32 vcc, 0, v0
	s_and_saveexec_b64 s[0:1], vcc
	s_cbranch_execz .LBB44_24
; %bb.23:
	v_cvt_f32_i32_e32 v1, s7
	s_load_dword s8, s[4:5], 0x40
	v_div_scale_f32 v3, s[2:3], v1, v1, v2
	v_rcp_f32_e32 v4, v3
	v_div_scale_f32 v5, vcc, v2, v1, v2
	s_mov_b32 s2, 0x800000
	v_fma_f32 v6, -v3, v4, 1.0
	v_fmac_f32_e32 v4, v6, v4
	v_mul_f32_e32 v6, v5, v4
	v_fma_f32 v7, -v3, v6, v5
	v_fmac_f32_e32 v6, v7, v4
	v_fma_f32 v3, -v3, v6, v5
	v_div_fmas_f32 v3, v3, v4, v6
	v_div_fixup_f32 v1, v3, v1, v2
	s_waitcnt lgkmcnt(0)
	v_add_f32_e32 v1, s8, v1
	v_mul_f32_e32 v2, 0x4b800000, v1
	v_cmp_gt_f32_e32 vcc, s2, v1
	v_cndmask_b32_e32 v1, v1, v2, vcc
	v_rsq_f32_e32 v1, v1
	v_mul_f32_e32 v2, 0x45800000, v1
	v_cndmask_b32_e32 v1, v1, v2, vcc
	v_mov_b32_e32 v2, 0
	ds_write_b32 v2, v1 offset:64
.LBB44_24:
	s_or_b64 exec, exec, s[0:1]
	v_cmp_gt_i32_e32 vcc, s7, v0
	s_waitcnt lgkmcnt(0)
	s_barrier
	s_and_saveexec_b64 s[0:1], vcc
	s_cbranch_execz .LBB44_27
; %bb.25:
	s_load_dwordx2 s[0:1], s[4:5], 0x0
	s_load_dwordx2 s[2:3], s[4:5], 0x38
	v_mov_b32_e32 v1, 0
	s_mul_i32 s4, s6, s7
	s_mov_b32 s5, 0
	ds_read_b32 v2, v1 offset:64
	s_lshl_b64 s[4:5], s[4:5], 1
	s_waitcnt lgkmcnt(0)
	s_add_u32 s6, s0, s4
	s_addc_u32 s0, s1, s5
	s_mov_b64 s[4:5], 0
	v_mov_b32_e32 v3, s18
	v_mov_b32_e32 v4, s3
	s_movk_i32 s3, 0x7fff
	v_mov_b32_e32 v5, 0x7fc00000
	v_mov_b32_e32 v6, 0x7fc0
	;; [unrolled: 1-line block ×3, first 2 shown]
.LBB44_26:                              ; =>This Inner Loop Header: Depth=1
	v_ashrrev_i32_e32 v1, 31, v0
	v_lshlrev_b64 v[8:9], 1, v[0:1]
	v_add_co_u32_e32 v10, vcc, s16, v8
	v_addc_co_u32_e32 v11, vcc, v3, v9, vcc
	v_add_co_u32_e32 v12, vcc, s2, v8
	v_addc_co_u32_e32 v13, vcc, v4, v9, vcc
	global_load_ushort v1, v[10:11], off
	global_load_ushort v14, v[12:13], off
	v_add_co_u32_e32 v8, vcc, s6, v8
	v_add_u32_e32 v0, s17, v0
	v_addc_co_u32_e32 v9, vcc, v7, v9, vcc
	v_cmp_le_i32_e32 vcc, s7, v0
	s_or_b64 s[4:5], vcc, s[4:5]
	s_waitcnt vmcnt(1)
	v_lshlrev_b32_e32 v1, 16, v1
	v_mul_f32_e32 v1, v2, v1
	v_bfe_u32 v11, v1, 16, 1
	v_add3_u32 v11, v1, v11, s3
	v_and_b32_e32 v11, 0xffff0000, v11
	v_cmp_o_f32_e64 s[0:1], v1, v1
	s_waitcnt vmcnt(0)
	v_lshlrev_b32_e32 v10, 16, v14
	v_cndmask_b32_e64 v1, v5, v11, s[0:1]
	v_mul_f32_e32 v1, v1, v10
	v_bfe_u32 v10, v1, 16, 1
	v_add3_u32 v10, v1, v10, s3
	v_lshrrev_b32_e32 v10, 16, v10
	v_cmp_o_f32_e64 s[0:1], v1, v1
	v_cndmask_b32_e64 v1, v6, v10, s[0:1]
	global_store_short v[8:9], v1, off
	s_andn2_b64 exec, exec, s[4:5]
	s_cbranch_execnz .LBB44_26
.LBB44_27:
	s_endpgm
.LBB44_28:
                                        ; implicit-def: $sgpr16_sgpr17
	s_branch .LBB44_2
.LBB44_29:
                                        ; implicit-def: $sgpr0_sgpr1
	s_branch .LBB44_5
	.section	.rodata,"a",@progbits
	.p2align	6, 0x0
	.amdhsa_kernel _ZN4vllm15rms_norm_kernelIN3c108BFloat16ELi1ELi4EEEvPT_PKS3_lllllS6_fii
		.amdhsa_group_segment_fixed_size 68
		.amdhsa_private_segment_fixed_size 0
		.amdhsa_kernarg_size 336
		.amdhsa_user_sgpr_count 6
		.amdhsa_user_sgpr_private_segment_buffer 1
		.amdhsa_user_sgpr_dispatch_ptr 0
		.amdhsa_user_sgpr_queue_ptr 0
		.amdhsa_user_sgpr_kernarg_segment_ptr 1
		.amdhsa_user_sgpr_dispatch_id 0
		.amdhsa_user_sgpr_flat_scratch_init 0
		.amdhsa_user_sgpr_kernarg_preload_length 0
		.amdhsa_user_sgpr_kernarg_preload_offset 0
		.amdhsa_user_sgpr_private_segment_size 0
		.amdhsa_uses_dynamic_stack 0
		.amdhsa_system_sgpr_private_segment_wavefront_offset 0
		.amdhsa_system_sgpr_workgroup_id_x 1
		.amdhsa_system_sgpr_workgroup_id_y 0
		.amdhsa_system_sgpr_workgroup_id_z 0
		.amdhsa_system_sgpr_workgroup_info 0
		.amdhsa_system_vgpr_workitem_id 0
		.amdhsa_next_free_vgpr 15
		.amdhsa_next_free_sgpr 35
		.amdhsa_accum_offset 16
		.amdhsa_reserve_vcc 1
		.amdhsa_reserve_flat_scratch 0
		.amdhsa_float_round_mode_32 0
		.amdhsa_float_round_mode_16_64 0
		.amdhsa_float_denorm_mode_32 3
		.amdhsa_float_denorm_mode_16_64 3
		.amdhsa_dx10_clamp 1
		.amdhsa_ieee_mode 1
		.amdhsa_fp16_overflow 0
		.amdhsa_tg_split 0
		.amdhsa_exception_fp_ieee_invalid_op 0
		.amdhsa_exception_fp_denorm_src 0
		.amdhsa_exception_fp_ieee_div_zero 0
		.amdhsa_exception_fp_ieee_overflow 0
		.amdhsa_exception_fp_ieee_underflow 0
		.amdhsa_exception_fp_ieee_inexact 0
		.amdhsa_exception_int_div_zero 0
	.end_amdhsa_kernel
	.section	.text._ZN4vllm15rms_norm_kernelIN3c108BFloat16ELi1ELi4EEEvPT_PKS3_lllllS6_fii,"axG",@progbits,_ZN4vllm15rms_norm_kernelIN3c108BFloat16ELi1ELi4EEEvPT_PKS3_lllllS6_fii,comdat
.Lfunc_end44:
	.size	_ZN4vllm15rms_norm_kernelIN3c108BFloat16ELi1ELi4EEEvPT_PKS3_lllllS6_fii, .Lfunc_end44-_ZN4vllm15rms_norm_kernelIN3c108BFloat16ELi1ELi4EEEvPT_PKS3_lllllS6_fii
                                        ; -- End function
	.section	.AMDGPU.csdata,"",@progbits
; Kernel info:
; codeLenInByte = 2968
; NumSgprs: 39
; NumVgprs: 15
; NumAgprs: 0
; TotalNumVgprs: 15
; ScratchSize: 0
; MemoryBound: 0
; FloatMode: 240
; IeeeMode: 1
; LDSByteSize: 68 bytes/workgroup (compile time only)
; SGPRBlocks: 4
; VGPRBlocks: 1
; NumSGPRsForWavesPerEU: 39
; NumVGPRsForWavesPerEU: 15
; AccumOffset: 16
; Occupancy: 8
; WaveLimiterHint : 0
; COMPUTE_PGM_RSRC2:SCRATCH_EN: 0
; COMPUTE_PGM_RSRC2:USER_SGPR: 6
; COMPUTE_PGM_RSRC2:TRAP_HANDLER: 0
; COMPUTE_PGM_RSRC2:TGID_X_EN: 1
; COMPUTE_PGM_RSRC2:TGID_Y_EN: 0
; COMPUTE_PGM_RSRC2:TGID_Z_EN: 0
; COMPUTE_PGM_RSRC2:TIDIG_COMP_CNT: 0
; COMPUTE_PGM_RSRC3_GFX90A:ACCUM_OFFSET: 3
; COMPUTE_PGM_RSRC3_GFX90A:TG_SPLIT: 0
	.section	.text._ZN4vllm25fused_add_rms_norm_kernelIfLi8EEENSt9enable_ifIXaagtT0_Li0Esr12_typeConvertIT_EE6existsEvE4typeEPS2_lS5_PKS2_fii,"axG",@progbits,_ZN4vllm25fused_add_rms_norm_kernelIfLi8EEENSt9enable_ifIXaagtT0_Li0Esr12_typeConvertIT_EE6existsEvE4typeEPS2_lS5_PKS2_fii,comdat
	.protected	_ZN4vllm25fused_add_rms_norm_kernelIfLi8EEENSt9enable_ifIXaagtT0_Li0Esr12_typeConvertIT_EE6existsEvE4typeEPS2_lS5_PKS2_fii ; -- Begin function _ZN4vllm25fused_add_rms_norm_kernelIfLi8EEENSt9enable_ifIXaagtT0_Li0Esr12_typeConvertIT_EE6existsEvE4typeEPS2_lS5_PKS2_fii
	.globl	_ZN4vllm25fused_add_rms_norm_kernelIfLi8EEENSt9enable_ifIXaagtT0_Li0Esr12_typeConvertIT_EE6existsEvE4typeEPS2_lS5_PKS2_fii
	.p2align	8
	.type	_ZN4vllm25fused_add_rms_norm_kernelIfLi8EEENSt9enable_ifIXaagtT0_Li0Esr12_typeConvertIT_EE6existsEvE4typeEPS2_lS5_PKS2_fii,@function
_ZN4vllm25fused_add_rms_norm_kernelIfLi8EEENSt9enable_ifIXaagtT0_Li0Esr12_typeConvertIT_EE6existsEvE4typeEPS2_lS5_PKS2_fii: ; @_ZN4vllm25fused_add_rms_norm_kernelIfLi8EEENSt9enable_ifIXaagtT0_Li0Esr12_typeConvertIT_EE6existsEvE4typeEPS2_lS5_PKS2_fii
; %bb.0:
	s_load_dword s20, s[4:5], 0x28
	s_load_dwordx4 s[8:11], s[4:5], 0x0
	s_load_dwordx2 s[12:13], s[4:5], 0x10
	s_mov_b32 s7, 0
                                        ; implicit-def: $sgpr17
                                        ; implicit-def: $sgpr18
	s_waitcnt lgkmcnt(0)
	s_ashr_i32 s0, s20, 31
	s_lshr_b32 s0, s0, 29
	s_add_i32 s0, s20, s0
	s_ashr_i32 s16, s0, 3
	s_ashr_i32 s0, s11, 31
	s_lshr_b32 s0, s0, 29
	s_add_u32 s14, s10, s0
	s_addc_u32 s15, s11, 0
	v_cmp_gt_i32_e64 s[0:1], s16, v0
	v_cmp_le_i32_e32 vcc, s16, v0
	s_and_saveexec_b64 s[2:3], vcc
	s_xor_b64 s[2:3], exec, s[2:3]
	s_cbranch_execz .LBB45_2
; %bb.1:
	s_load_dword s17, s[4:5], 0x3c
	s_waitcnt lgkmcnt(0)
	s_and_b32 s18, s17, 0xffff
.LBB45_2:
	s_or_saveexec_b64 s[2:3], s[2:3]
	s_load_dwordx2 s[10:11], s[4:5], 0x18
	s_ashr_i64 s[14:15], s[14:15], 3
	v_mov_b32_e32 v4, s7
	v_mov_b32_e32 v1, s17
	;; [unrolled: 1-line block ×3, first 2 shown]
	s_mul_i32 s17, s16, s6
	s_mul_i32 s18, s15, s6
	s_mul_hi_u32 s19, s14, s6
	s_mul_i32 s6, s14, s6
	s_xor_b64 exec, exec, s[2:3]
	s_cbranch_execz .LBB45_6
; %bb.3:
	s_load_dword s21, s[4:5], 0x3c
	s_add_i32 s7, s19, s18
	s_lshl_b64 s[14:15], s[6:7], 5
	v_lshlrev_b32_e32 v1, 5, v0
	s_mov_b32 s23, 0
	s_waitcnt lgkmcnt(0)
	s_and_b32 s7, s21, 0xffff
	s_add_u32 s14, s8, s14
	s_addc_u32 s15, s9, s15
	v_mov_b32_e32 v2, s15
	v_add_co_u32_e32 v1, vcc, s14, v1
	v_addc_co_u32_e32 v3, vcc, 0, v2, vcc
	v_add_co_u32_e32 v2, vcc, 28, v1
	v_addc_co_u32_e32 v3, vcc, 0, v3, vcc
	s_lshl_b32 s22, s7, 5
	s_mov_b64 s[14:15], 0
	v_mov_b32_e32 v4, 0
	v_mov_b32_e32 v1, s13
	;; [unrolled: 1-line block ×4, first 2 shown]
.LBB45_4:                               ; =>This Inner Loop Header: Depth=1
	v_add_u32_e32 v16, s17, v6
	v_ashrrev_i32_e32 v17, 31, v16
	v_lshlrev_b64 v[16:17], 5, v[16:17]
	v_add_co_u32_e32 v24, vcc, s12, v16
	global_load_dwordx4 v[8:11], v[2:3], off offset:-12
	global_load_dwordx4 v[12:15], v[2:3], off offset:-28
	v_addc_co_u32_e32 v25, vcc, v1, v17, vcc
	global_load_dwordx4 v[16:19], v[24:25], off
	global_load_dwordx4 v[20:23], v[24:25], off offset:16
	v_add_co_u32_e32 v2, vcc, s22, v2
	v_add_u32_e32 v6, s7, v6
	v_addc_co_u32_e32 v3, vcc, v3, v5, vcc
	v_cmp_le_i32_e32 vcc, s16, v6
	s_or_b64 s[14:15], vcc, s[14:15]
	s_waitcnt vmcnt(3)
	v_mov_b32_e32 v29, v10
	s_waitcnt vmcnt(2)
	v_mov_b32_e32 v27, v14
	v_mov_b32_e32 v14, v13
	;; [unrolled: 1-line block ×3, first 2 shown]
	s_waitcnt vmcnt(1)
	v_mov_b32_e32 v9, v18
	v_mov_b32_e32 v18, v17
	;; [unrolled: 1-line block ×5, first 2 shown]
	s_waitcnt vmcnt(0)
	v_mov_b32_e32 v16, v20
	v_mov_b32_e32 v17, v22
	;; [unrolled: 1-line block ×3, first 2 shown]
	v_pk_add_f32 v[12:13], v[14:15], v[18:19]
	v_pk_add_f32 v[8:9], v[26:27], v[8:9]
	;; [unrolled: 1-line block ×4, first 2 shown]
	v_pk_mul_f32 v[20:21], v[12:13], v[12:13]
	v_pk_mul_f32 v[22:23], v[16:17], v[16:17]
	v_mov_b32_e32 v10, v8
	v_mov_b32_e32 v11, v12
	;; [unrolled: 1-line block ×3, first 2 shown]
	v_pk_fma_f32 v[8:9], v[8:9], v[8:9], v[20:21]
	v_mov_b32_e32 v14, v18
	v_mov_b32_e32 v15, v16
	;; [unrolled: 1-line block ×3, first 2 shown]
	v_pk_fma_f32 v[18:19], v[18:19], v[18:19], v[22:23]
	v_add_f32_e32 v7, v8, v9
	v_add_f32_e32 v7, v7, v18
	;; [unrolled: 1-line block ×4, first 2 shown]
	global_store_dwordx4 v[24:25], v[10:13], off
	global_store_dwordx4 v[24:25], v[14:17], off offset:16
	s_andn2_b64 exec, exec, s[14:15]
	s_cbranch_execnz .LBB45_4
; %bb.5:
	s_or_b64 exec, exec, s[14:15]
	v_mov_b32_e32 v1, s21
	v_mov_b32_e32 v26, s7
.LBB45_6:
	s_or_b64 exec, exec, s[2:3]
	v_mbcnt_lo_u32_b32 v2, -1, 0
	v_mbcnt_hi_u32_b32 v2, -1, v2
	v_and_b32_e32 v3, 63, v2
	v_cmp_ne_u32_e32 vcc, 63, v3
	v_addc_co_u32_e32 v5, vcc, 0, v2, vcc
	v_lshlrev_b32_e32 v5, 2, v5
	ds_bpermute_b32 v5, v5, v4
	v_and_b32_e32 v6, 0x3c0, v0
	v_sub_u32_e64 v6, v26, v6 clamp
	v_add_u32_e32 v7, 1, v2
	v_cmp_lt_u32_e32 vcc, v7, v6
	s_waitcnt lgkmcnt(0)
	v_add_f32_e32 v5, v4, v5
	v_cndmask_b32_e32 v4, v4, v5, vcc
	v_cmp_gt_u32_e32 vcc, 62, v3
	v_cndmask_b32_e64 v5, 0, 1, vcc
	v_lshlrev_b32_e32 v5, 1, v5
	v_add_lshl_u32 v5, v5, v2, 2
	ds_bpermute_b32 v5, v5, v4
	v_add_u32_e32 v7, 2, v2
	v_cmp_lt_u32_e32 vcc, v7, v6
	v_add_u32_e32 v7, 4, v2
	s_waitcnt lgkmcnt(0)
	v_add_f32_e32 v5, v4, v5
	v_cndmask_b32_e32 v4, v4, v5, vcc
	v_cmp_gt_u32_e32 vcc, 60, v3
	v_cndmask_b32_e64 v5, 0, 1, vcc
	v_lshlrev_b32_e32 v5, 2, v5
	v_add_lshl_u32 v5, v5, v2, 2
	ds_bpermute_b32 v5, v5, v4
	v_cmp_lt_u32_e32 vcc, v7, v6
	v_add_u32_e32 v7, 8, v2
	s_waitcnt lgkmcnt(0)
	v_add_f32_e32 v5, v4, v5
	v_cndmask_b32_e32 v4, v4, v5, vcc
	v_cmp_gt_u32_e32 vcc, 56, v3
	v_cndmask_b32_e64 v5, 0, 1, vcc
	v_lshlrev_b32_e32 v5, 3, v5
	v_add_lshl_u32 v5, v5, v2, 2
	ds_bpermute_b32 v5, v5, v4
	;; [unrolled: 10-line block ×3, first 2 shown]
	v_cmp_lt_u32_e32 vcc, v7, v6
	s_waitcnt lgkmcnt(0)
	v_add_f32_e32 v5, v4, v5
	v_cndmask_b32_e32 v4, v4, v5, vcc
	v_cmp_gt_u32_e32 vcc, 32, v3
	v_cndmask_b32_e64 v3, 0, 1, vcc
	v_lshlrev_b32_e32 v3, 5, v3
	v_add_lshl_u32 v3, v3, v2, 2
	ds_bpermute_b32 v3, v3, v4
	v_add_u32_e32 v5, 32, v2
	v_cmp_lt_u32_e32 vcc, v5, v6
	s_waitcnt lgkmcnt(0)
	v_add_f32_e32 v3, v4, v3
	v_cndmask_b32_e32 v3, v4, v3, vcc
	v_cmp_eq_u32_e32 vcc, 0, v2
	s_and_saveexec_b64 s[2:3], vcc
	s_cbranch_execz .LBB45_8
; %bb.7:
	v_lshrrev_b32_e32 v4, 4, v0
	v_and_b32_e32 v4, 60, v4
	ds_write_b32 v4, v3
.LBB45_8:
	s_or_b64 exec, exec, s[2:3]
	v_cmp_gt_u32_e32 vcc, 16, v0
	s_waitcnt lgkmcnt(0)
	s_barrier
	s_and_saveexec_b64 s[14:15], vcc
	s_cbranch_execz .LBB45_10
; %bb.9:
	v_lshlrev_b32_e32 v3, 2, v2
	ds_read_b32 v3, v3
	v_and_b32_e32 v4, 15, v2
	v_cmp_ne_u32_e32 vcc, 15, v4
	v_addc_co_u32_e32 v5, vcc, 0, v2, vcc
	v_lshlrev_b32_e32 v5, 2, v5
	s_waitcnt lgkmcnt(0)
	ds_bpermute_b32 v5, v5, v3
	v_add_u32_e32 v6, 63, v26
	v_lshrrev_b32_e32 v6, 6, v6
	v_add_u32_e32 v7, 1, v4
	v_cmp_gt_u32_e64 s[2:3], 14, v4
	v_cmp_lt_u32_e32 vcc, v7, v6
	v_cndmask_b32_e64 v7, 0, 1, s[2:3]
	s_waitcnt lgkmcnt(0)
	v_add_f32_e32 v5, v3, v5
	v_lshlrev_b32_e32 v7, 1, v7
	v_cndmask_b32_e32 v5, v3, v5, vcc
	v_add_lshl_u32 v7, v7, v2, 2
	ds_bpermute_b32 v7, v7, v5
	v_add_u32_e32 v8, 2, v4
	v_cmp_lt_u32_e64 s[2:3], v8, v6
	v_add_u32_e32 v8, 4, v4
	s_waitcnt lgkmcnt(0)
	v_add_f32_e32 v7, v5, v7
	v_cndmask_b32_e64 v5, v5, v7, s[2:3]
	v_cmp_gt_u32_e64 s[2:3], 12, v4
	v_cndmask_b32_e64 v7, 0, 1, s[2:3]
	v_lshlrev_b32_e32 v7, 2, v7
	v_add_lshl_u32 v7, v7, v2, 2
	ds_bpermute_b32 v7, v7, v5
	v_cmp_lt_u32_e64 s[2:3], v8, v6
	s_waitcnt lgkmcnt(0)
	v_add_f32_e32 v7, v5, v7
	v_cndmask_b32_e64 v5, v5, v7, s[2:3]
	v_cmp_gt_u32_e64 s[2:3], 8, v4
	v_cndmask_b32_e64 v7, 0, 1, s[2:3]
	v_lshlrev_b32_e32 v7, 3, v7
	v_add_lshl_u32 v2, v7, v2, 2
	ds_bpermute_b32 v2, v2, v5
	v_add_u32_e32 v4, 8, v4
	v_cmp_lt_u32_e64 s[2:3], v4, v6
	s_waitcnt lgkmcnt(0)
	v_add_f32_e32 v2, v5, v2
	v_cndmask_b32_e64 v2, v5, v2, s[2:3]
	v_cndmask_b32_e32 v3, v3, v2, vcc
.LBB45_10:
	s_or_b64 exec, exec, s[14:15]
	v_cmp_eq_u32_e32 vcc, 0, v0
	s_and_saveexec_b64 s[2:3], vcc
	s_cbranch_execz .LBB45_12
; %bb.11:
	v_cvt_f32_i32_e32 v2, s20
	s_load_dword s7, s[4:5], 0x20
	v_div_scale_f32 v4, s[4:5], v2, v2, v3
	v_rcp_f32_e32 v5, v4
	v_div_scale_f32 v6, vcc, v3, v2, v3
	s_mov_b32 s4, 0x800000
	v_fma_f32 v7, -v4, v5, 1.0
	v_fmac_f32_e32 v5, v7, v5
	v_mul_f32_e32 v7, v6, v5
	v_fma_f32 v8, -v4, v7, v6
	v_fmac_f32_e32 v7, v8, v5
	v_fma_f32 v4, -v4, v7, v6
	v_div_fmas_f32 v4, v4, v5, v7
	v_div_fixup_f32 v2, v4, v2, v3
	s_waitcnt lgkmcnt(0)
	v_add_f32_e32 v2, s7, v2
	v_mul_f32_e32 v3, 0x4b800000, v2
	v_cmp_gt_f32_e32 vcc, s4, v2
	v_cndmask_b32_e32 v2, v2, v3, vcc
	v_rsq_f32_e32 v2, v2
	v_mul_f32_e32 v3, 0x45800000, v2
	v_cndmask_b32_e32 v2, v2, v3, vcc
	v_mov_b32_e32 v3, 0
	ds_write_b32 v3, v2 offset:64
.LBB45_12:
	s_or_b64 exec, exec, s[2:3]
	s_waitcnt lgkmcnt(0)
	s_barrier
	s_and_saveexec_b64 s[2:3], s[0:1]
	s_cbranch_execz .LBB45_22
; %bb.13:
	v_cvt_f32_u32_e32 v3, v26
	v_mov_b32_e32 v2, 0
	ds_read_b32 v28, v2 offset:64
	s_add_i32 s7, s19, s18
	v_rcp_iflag_f32_e32 v2, v3
	s_lshl_b64 s[0:1], s[6:7], 5
	s_add_u32 s14, s8, s0
	v_add_u32_e32 v3, v0, v26
	v_mul_f32_e32 v2, 0x4f7ffffe, v2
	v_cvt_u32_f32_e32 v2, v2
	s_addc_u32 s15, s9, s1
	v_cmp_gt_i32_e64 s[0:1], s16, v3
	v_max_i32_e32 v4, s16, v3
	v_addc_co_u32_e64 v3, vcc, v0, v26, s[0:1]
	v_sub_u32_e32 v3, v4, v3
	v_sub_u32_e32 v4, 0, v26
	v_mul_lo_u32 v4, v4, v2
	v_mul_hi_u32 v4, v2, v4
	v_add_u32_e32 v2, v2, v4
	v_mul_hi_u32 v2, v3, v2
	v_mul_lo_u32 v4, v2, v26
	v_sub_u32_e32 v3, v3, v4
	v_add_u32_e32 v4, 1, v2
	v_cmp_ge_u32_e32 vcc, v3, v26
	v_cndmask_b32_e32 v2, v2, v4, vcc
	v_sub_u32_e32 v4, v3, v26
	v_cndmask_b32_e32 v3, v3, v4, vcc
	v_add_u32_e32 v4, 1, v2
	v_cmp_ge_u32_e32 vcc, v3, v26
	v_cndmask_b32_e32 v2, v2, v4, vcc
	v_addc_co_u32_e64 v27, vcc, 1, v2, s[0:1]
	v_cmp_gt_u32_e32 vcc, 4, v27
	v_cmp_lt_u32_e64 s[2:3], 3, v27
	s_and_saveexec_b64 s[4:5], s[2:3]
	s_cbranch_execz .LBB45_19
; %bb.14:
	v_addc_co_u32_e64 v2, s[0:1], 0, v2, s[0:1]
	v_cmp_eq_u16_e64 s[0:1], 1, v1
	v_add_u32_e32 v1, s17, v0
	v_add_u32_e32 v2, v1, v2
	v_cmp_ge_i32_e64 s[2:3], v2, v1
	s_and_b64 s[2:3], s[0:1], s[2:3]
	s_mov_b64 s[0:1], -1
	s_and_saveexec_b64 s[6:7], s[2:3]
	s_cbranch_execz .LBB45_18
; %bb.15:
	v_and_b32_e32 v36, -2, v27
	v_mad_u32_u24 v1, v26, 1, v0
	s_mov_b32 s18, s17
	s_waitcnt lgkmcnt(0)
	v_mov_b32_e32 v29, v28
	s_mov_b64 s[8:9], 0
	v_mov_b32_e32 v37, s13
	v_mov_b32_e32 v38, s11
	;; [unrolled: 1-line block ×5, first 2 shown]
	v_pk_mov_b32 v[32:33], v[0:1], v[0:1] op_sel:[0,1]
.LBB45_16:                              ; =>This Inner Loop Header: Depth=1
	v_mov_b32_e32 v30, v32
	v_add_u32_e32 v2, s17, v32
	v_lshlrev_b64 v[34:35], 5, v[30:31]
	v_ashrrev_i32_e32 v3, 31, v2
	v_add_co_u32_e64 v6, s[0:1], s10, v34
	v_add_u32_e32 v4, s18, v33
	v_lshlrev_b64 v[2:3], 5, v[2:3]
	v_addc_co_u32_e64 v7, s[0:1], v38, v35, s[0:1]
	v_ashrrev_i32_e32 v5, 31, v4
	v_add_co_u32_e64 v52, s[0:1], s12, v2
	v_lshlrev_b64 v[4:5], 5, v[4:5]
	v_addc_co_u32_e64 v53, s[0:1], v37, v3, s[0:1]
	v_mov_b32_e32 v30, v33
	v_add_co_u32_e64 v54, s[0:1], s12, v4
	v_lshlrev_b64 v[50:51], 5, v[30:31]
	v_addc_co_u32_e64 v55, s[0:1], v37, v5, s[0:1]
	v_add_co_u32_e64 v56, s[0:1], s10, v50
	global_load_dwordx4 v[2:5], v[6:7], off offset:16
	global_load_dwordx4 v[18:21], v[6:7], off
	v_addc_co_u32_e64 v57, s[0:1], v38, v51, s[0:1]
	global_load_dwordx4 v[42:45], v[52:53], off
	global_load_dwordx4 v[10:13], v[54:55], off
	global_load_dwordx4 v[46:49], v[52:53], off offset:16
	global_load_dwordx4 v[6:9], v[54:55], off offset:16
	global_load_dwordx4 v[22:25], v[56:57], off
	global_load_dwordx4 v[14:17], v[56:57], off offset:16
	v_add_u32_e32 v40, -2, v40
	v_cmp_eq_u32_e64 s[0:1], 0, v40
	v_add_co_u32_e64 v34, s[2:3], s14, v34
	v_add_u32_e32 v32, 2, v32
	v_add_u32_e32 v33, 2, v33
	v_addc_co_u32_e64 v35, s[2:3], v39, v35, s[2:3]
	s_or_b64 s[8:9], s[0:1], s[8:9]
	v_add_co_u32_e64 v50, s[0:1], s14, v50
	v_addc_co_u32_e64 v51, s[0:1], v39, v51, s[0:1]
	s_waitcnt vmcnt(5)
	v_mov_b32_e32 v56, v42
	s_waitcnt vmcnt(4)
	v_mov_b32_e32 v57, v10
	v_mov_b32_e32 v10, v43
	;; [unrolled: 1-line block ×9, first 2 shown]
	s_waitcnt vmcnt(3)
	v_mov_b32_e32 v44, v46
	s_waitcnt vmcnt(2)
	v_mov_b32_e32 v45, v6
	v_mov_b32_e32 v6, v47
	;; [unrolled: 1-line block ×5, first 2 shown]
	s_waitcnt vmcnt(1)
	v_mov_b32_e32 v53, v22
	v_mov_b32_e32 v22, v19
	;; [unrolled: 1-line block ×4, first 2 shown]
	s_waitcnt vmcnt(0)
	v_mov_b32_e32 v21, v14
	v_mov_b32_e32 v14, v3
	;; [unrolled: 1-line block ×4, first 2 shown]
	v_pk_mul_f32 v[2:3], v[56:57], v[28:29]
	v_pk_mul_f32 v[4:5], v[10:11], v[28:29]
	;; [unrolled: 1-line block ×16, first 2 shown]
	v_mov_b32_e32 v10, v46
	v_mov_b32_e32 v11, v2
	;; [unrolled: 1-line block ×12, first 2 shown]
	global_store_dwordx4 v[34:35], v[10:13], off
	global_store_dwordx4 v[50:51], v[2:5], off
	global_store_dwordx4 v[34:35], v[14:17], off offset:16
	global_store_dwordx4 v[50:51], v[6:9], off offset:16
	s_andn2_b64 exec, exec, s[8:9]
	s_cbranch_execnz .LBB45_16
; %bb.17:
	s_or_b64 exec, exec, s[8:9]
	v_mad_u64_u32 v[0:1], s[0:1], v36, v26, v[0:1]
	v_cmp_ne_u32_e64 s[0:1], v27, v36
	s_orn2_b64 s[0:1], s[0:1], exec
.LBB45_18:
	s_or_b64 exec, exec, s[6:7]
	s_andn2_b64 s[2:3], vcc, exec
	s_and_b64 s[0:1], s[0:1], exec
	s_or_b64 vcc, s[2:3], s[0:1]
.LBB45_19:
	s_or_b64 exec, exec, s[4:5]
	s_and_b64 exec, exec, vcc
	s_cbranch_execz .LBB45_22
; %bb.20:
	v_mov_b32_e32 v1, 0
	v_mov_b32_e32 v27, v1
	s_waitcnt lgkmcnt(0)
	v_mov_b32_e32 v29, v28
	v_lshlrev_b64 v[2:3], 5, v[0:1]
	v_lshlrev_b64 v[4:5], 5, v[26:27]
	s_mov_b64 s[0:1], 0
	v_mov_b32_e32 v1, s13
	v_mov_b32_e32 v6, s11
	v_mov_b32_e32 v7, s15
.LBB45_21:                              ; =>This Inner Loop Header: Depth=1
	v_add_u32_e32 v12, s17, v0
	v_add_co_u32_e32 v24, vcc, s10, v2
	v_ashrrev_i32_e32 v13, 31, v12
	v_addc_co_u32_e32 v25, vcc, v6, v3, vcc
	v_lshlrev_b64 v[12:13], 5, v[12:13]
	v_add_co_u32_e32 v30, vcc, s12, v12
	global_load_dwordx4 v[8:11], v[24:25], off
	v_addc_co_u32_e32 v31, vcc, v1, v13, vcc
	global_load_dwordx4 v[12:15], v[30:31], off
	global_load_dwordx4 v[16:19], v[30:31], off offset:16
	global_load_dwordx4 v[20:23], v[24:25], off offset:16
	v_add_co_u32_e32 v24, vcc, s14, v2
	v_addc_co_u32_e32 v25, vcc, v7, v3, vcc
	v_add_co_u32_e32 v2, vcc, v2, v4
	v_add_u32_e32 v0, v0, v26
	v_addc_co_u32_e32 v3, vcc, v3, v5, vcc
	v_cmp_le_i32_e32 vcc, s16, v0
	s_or_b64 s[0:1], vcc, s[0:1]
	s_waitcnt vmcnt(2)
	v_pk_mul_f32 v[12:13], v[12:13], v[28:29]
	v_pk_mul_f32 v[14:15], v[14:15], v[28:29]
	s_waitcnt vmcnt(1)
	v_pk_mul_f32 v[16:17], v[16:17], v[28:29]
	v_pk_mul_f32 v[18:19], v[18:19], v[28:29]
	v_pk_mul_f32 v[8:9], v[12:13], v[8:9]
	v_pk_mul_f32 v[10:11], v[14:15], v[10:11]
	s_waitcnt vmcnt(0)
	v_pk_mul_f32 v[12:13], v[16:17], v[20:21]
	v_pk_mul_f32 v[14:15], v[18:19], v[22:23]
	global_store_dwordx4 v[24:25], v[8:11], off
	global_store_dwordx4 v[24:25], v[12:15], off offset:16
	s_andn2_b64 exec, exec, s[0:1]
	s_cbranch_execnz .LBB45_21
.LBB45_22:
	s_endpgm
	.section	.rodata,"a",@progbits
	.p2align	6, 0x0
	.amdhsa_kernel _ZN4vllm25fused_add_rms_norm_kernelIfLi8EEENSt9enable_ifIXaagtT0_Li0Esr12_typeConvertIT_EE6existsEvE4typeEPS2_lS5_PKS2_fii
		.amdhsa_group_segment_fixed_size 68
		.amdhsa_private_segment_fixed_size 0
		.amdhsa_kernarg_size 304
		.amdhsa_user_sgpr_count 6
		.amdhsa_user_sgpr_private_segment_buffer 1
		.amdhsa_user_sgpr_dispatch_ptr 0
		.amdhsa_user_sgpr_queue_ptr 0
		.amdhsa_user_sgpr_kernarg_segment_ptr 1
		.amdhsa_user_sgpr_dispatch_id 0
		.amdhsa_user_sgpr_flat_scratch_init 0
		.amdhsa_user_sgpr_kernarg_preload_length 0
		.amdhsa_user_sgpr_kernarg_preload_offset 0
		.amdhsa_user_sgpr_private_segment_size 0
		.amdhsa_uses_dynamic_stack 0
		.amdhsa_system_sgpr_private_segment_wavefront_offset 0
		.amdhsa_system_sgpr_workgroup_id_x 1
		.amdhsa_system_sgpr_workgroup_id_y 0
		.amdhsa_system_sgpr_workgroup_id_z 0
		.amdhsa_system_sgpr_workgroup_info 0
		.amdhsa_system_vgpr_workitem_id 0
		.amdhsa_next_free_vgpr 58
		.amdhsa_next_free_sgpr 24
		.amdhsa_accum_offset 60
		.amdhsa_reserve_vcc 1
		.amdhsa_reserve_flat_scratch 0
		.amdhsa_float_round_mode_32 0
		.amdhsa_float_round_mode_16_64 0
		.amdhsa_float_denorm_mode_32 3
		.amdhsa_float_denorm_mode_16_64 3
		.amdhsa_dx10_clamp 1
		.amdhsa_ieee_mode 1
		.amdhsa_fp16_overflow 0
		.amdhsa_tg_split 0
		.amdhsa_exception_fp_ieee_invalid_op 0
		.amdhsa_exception_fp_denorm_src 0
		.amdhsa_exception_fp_ieee_div_zero 0
		.amdhsa_exception_fp_ieee_overflow 0
		.amdhsa_exception_fp_ieee_underflow 0
		.amdhsa_exception_fp_ieee_inexact 0
		.amdhsa_exception_int_div_zero 0
	.end_amdhsa_kernel
	.section	.text._ZN4vllm25fused_add_rms_norm_kernelIfLi8EEENSt9enable_ifIXaagtT0_Li0Esr12_typeConvertIT_EE6existsEvE4typeEPS2_lS5_PKS2_fii,"axG",@progbits,_ZN4vllm25fused_add_rms_norm_kernelIfLi8EEENSt9enable_ifIXaagtT0_Li0Esr12_typeConvertIT_EE6existsEvE4typeEPS2_lS5_PKS2_fii,comdat
.Lfunc_end45:
	.size	_ZN4vllm25fused_add_rms_norm_kernelIfLi8EEENSt9enable_ifIXaagtT0_Li0Esr12_typeConvertIT_EE6existsEvE4typeEPS2_lS5_PKS2_fii, .Lfunc_end45-_ZN4vllm25fused_add_rms_norm_kernelIfLi8EEENSt9enable_ifIXaagtT0_Li0Esr12_typeConvertIT_EE6existsEvE4typeEPS2_lS5_PKS2_fii
                                        ; -- End function
	.section	.AMDGPU.csdata,"",@progbits
; Kernel info:
; codeLenInByte = 2520
; NumSgprs: 28
; NumVgprs: 58
; NumAgprs: 0
; TotalNumVgprs: 58
; ScratchSize: 0
; MemoryBound: 0
; FloatMode: 240
; IeeeMode: 1
; LDSByteSize: 68 bytes/workgroup (compile time only)
; SGPRBlocks: 3
; VGPRBlocks: 7
; NumSGPRsForWavesPerEU: 28
; NumVGPRsForWavesPerEU: 58
; AccumOffset: 60
; Occupancy: 8
; WaveLimiterHint : 0
; COMPUTE_PGM_RSRC2:SCRATCH_EN: 0
; COMPUTE_PGM_RSRC2:USER_SGPR: 6
; COMPUTE_PGM_RSRC2:TRAP_HANDLER: 0
; COMPUTE_PGM_RSRC2:TGID_X_EN: 1
; COMPUTE_PGM_RSRC2:TGID_Y_EN: 0
; COMPUTE_PGM_RSRC2:TGID_Z_EN: 0
; COMPUTE_PGM_RSRC2:TIDIG_COMP_CNT: 0
; COMPUTE_PGM_RSRC3_GFX90A:ACCUM_OFFSET: 14
; COMPUTE_PGM_RSRC3_GFX90A:TG_SPLIT: 0
	.section	.text._ZN4vllm25fused_add_rms_norm_kernelIN3c104HalfELi8EEENSt9enable_ifIXaagtT0_Li0Esr12_typeConvertIT_EE6existsEvE4typeEPS4_lS7_PKS4_fii,"axG",@progbits,_ZN4vllm25fused_add_rms_norm_kernelIN3c104HalfELi8EEENSt9enable_ifIXaagtT0_Li0Esr12_typeConvertIT_EE6existsEvE4typeEPS4_lS7_PKS4_fii,comdat
	.protected	_ZN4vllm25fused_add_rms_norm_kernelIN3c104HalfELi8EEENSt9enable_ifIXaagtT0_Li0Esr12_typeConvertIT_EE6existsEvE4typeEPS4_lS7_PKS4_fii ; -- Begin function _ZN4vllm25fused_add_rms_norm_kernelIN3c104HalfELi8EEENSt9enable_ifIXaagtT0_Li0Esr12_typeConvertIT_EE6existsEvE4typeEPS4_lS7_PKS4_fii
	.globl	_ZN4vllm25fused_add_rms_norm_kernelIN3c104HalfELi8EEENSt9enable_ifIXaagtT0_Li0Esr12_typeConvertIT_EE6existsEvE4typeEPS4_lS7_PKS4_fii
	.p2align	8
	.type	_ZN4vllm25fused_add_rms_norm_kernelIN3c104HalfELi8EEENSt9enable_ifIXaagtT0_Li0Esr12_typeConvertIT_EE6existsEvE4typeEPS4_lS7_PKS4_fii,@function
_ZN4vllm25fused_add_rms_norm_kernelIN3c104HalfELi8EEENSt9enable_ifIXaagtT0_Li0Esr12_typeConvertIT_EE6existsEvE4typeEPS4_lS7_PKS4_fii: ; @_ZN4vllm25fused_add_rms_norm_kernelIN3c104HalfELi8EEENSt9enable_ifIXaagtT0_Li0Esr12_typeConvertIT_EE6existsEvE4typeEPS4_lS7_PKS4_fii
; %bb.0:
	s_load_dword s20, s[4:5], 0x28
	s_load_dwordx4 s[8:11], s[4:5], 0x0
	s_load_dwordx2 s[12:13], s[4:5], 0x10
	s_mov_b32 s7, 0
                                        ; implicit-def: $sgpr17
	s_waitcnt lgkmcnt(0)
	s_ashr_i32 s0, s20, 31
	s_lshr_b32 s0, s0, 29
	s_add_i32 s0, s20, s0
	s_ashr_i32 s16, s0, 3
	s_ashr_i32 s0, s11, 31
	s_lshr_b32 s0, s0, 29
	s_add_u32 s14, s10, s0
	s_addc_u32 s15, s11, 0
	v_cmp_gt_i32_e64 s[0:1], s16, v0
	v_cmp_le_i32_e32 vcc, s16, v0
	s_and_saveexec_b64 s[2:3], vcc
	s_xor_b64 s[2:3], exec, s[2:3]
	s_cbranch_execz .LBB46_2
; %bb.1:
	s_load_dword s10, s[4:5], 0x3c
	s_waitcnt lgkmcnt(0)
	s_and_b32 s17, s10, 0xffff
.LBB46_2:
	s_or_saveexec_b64 s[2:3], s[2:3]
	s_load_dwordx2 s[10:11], s[4:5], 0x18
	s_ashr_i64 s[14:15], s[14:15], 3
	v_mov_b32_e32 v3, s7
	v_mov_b32_e32 v4, s17
	s_mul_i32 s17, s16, s6
	s_mul_i32 s18, s15, s6
	s_mul_hi_u32 s19, s14, s6
	s_mul_i32 s6, s14, s6
	v_lshlrev_b32_e32 v2, 4, v0
	s_xor_b64 exec, exec, s[2:3]
	s_cbranch_execz .LBB46_6
; %bb.3:
	s_load_dword s21, s[4:5], 0x3c
	s_add_i32 s7, s19, s18
	s_lshl_b64 s[14:15], s[6:7], 4
	s_mov_b32 s22, 0
	v_mov_b32_e32 v6, s22
	s_waitcnt lgkmcnt(0)
	s_and_b32 s7, s21, 0xffff
	s_add_u32 s14, s8, s14
	s_addc_u32 s15, s9, s15
	v_mov_b32_e32 v1, s15
	v_add_co_u32_e32 v3, vcc, s14, v2
	v_addc_co_u32_e32 v1, vcc, 0, v1, vcc
	v_add_co_u32_e32 v4, vcc, 8, v3
	v_addc_co_u32_e32 v5, vcc, 0, v1, vcc
	s_lshl_b32 s21, s7, 4
	s_mov_b64 s[14:15], 0
	v_mov_b32_e32 v3, 0
	v_mov_b32_e32 v1, s13
	;; [unrolled: 1-line block ×3, first 2 shown]
.LBB46_4:                               ; =>This Inner Loop Header: Depth=1
	v_add_u32_e32 v12, s17, v7
	v_ashrrev_i32_e32 v13, 31, v12
	v_lshlrev_b64 v[12:13], 4, v[12:13]
	v_add_co_u32_e32 v16, vcc, s12, v12
	v_addc_co_u32_e32 v17, vcc, v1, v13, vcc
	global_load_dwordx4 v[8:11], v[4:5], off offset:-8
	global_load_dwordx4 v[12:15], v[16:17], off
	v_add_co_u32_e32 v4, vcc, s21, v4
	v_add_u32_e32 v7, s7, v7
	v_addc_co_u32_e32 v5, vcc, v5, v6, vcc
	v_cmp_le_i32_e32 vcc, s16, v7
	s_or_b64 s[14:15], vcc, s[14:15]
	s_waitcnt vmcnt(0)
	v_pk_add_f16 v8, v8, v12
	v_pk_add_f16 v9, v9, v13
	v_pk_add_f16 v10, v10, v14
	v_cvt_f32_f16_sdwa v12, v8 dst_sel:DWORD dst_unused:UNUSED_PAD src0_sel:WORD_1
	v_cvt_f32_f16_sdwa v13, v9 dst_sel:DWORD dst_unused:UNUSED_PAD src0_sel:WORD_1
	v_pk_add_f16 v11, v11, v15
	v_cvt_f32_f16_sdwa v14, v10 dst_sel:DWORD dst_unused:UNUSED_PAD src0_sel:WORD_1
	v_cvt_f32_f16_sdwa v15, v11 dst_sel:DWORD dst_unused:UNUSED_PAD src0_sel:WORD_1
	v_mul_f32_e32 v12, v12, v12
	v_mul_f32_e32 v13, v13, v13
	global_store_dwordx4 v[16:17], v[8:11], off
	v_mul_f32_e32 v14, v14, v14
	v_fma_mix_f32 v8, v8, v8, v12 op_sel_hi:[1,1,0]
	v_fma_mix_f32 v9, v9, v9, v13 op_sel_hi:[1,1,0]
	v_mul_f32_e32 v15, v15, v15
	v_fma_mix_f32 v10, v10, v10, v14 op_sel_hi:[1,1,0]
	v_add_f32_e32 v8, v8, v9
	v_fma_mix_f32 v11, v11, v11, v15 op_sel_hi:[1,1,0]
	v_add_f32_e32 v8, v8, v10
	v_add_f32_e32 v8, v8, v11
	;; [unrolled: 1-line block ×3, first 2 shown]
	s_andn2_b64 exec, exec, s[14:15]
	s_cbranch_execnz .LBB46_4
; %bb.5:
	s_or_b64 exec, exec, s[14:15]
	v_mov_b32_e32 v4, s7
.LBB46_6:
	s_or_b64 exec, exec, s[2:3]
	v_mbcnt_lo_u32_b32 v1, -1, 0
	v_mbcnt_hi_u32_b32 v1, -1, v1
	v_and_b32_e32 v5, 63, v1
	v_cmp_ne_u32_e32 vcc, 63, v5
	v_addc_co_u32_e32 v6, vcc, 0, v1, vcc
	v_lshlrev_b32_e32 v6, 2, v6
	ds_bpermute_b32 v6, v6, v3
	v_and_b32_e32 v7, 0x3c0, v0
	v_sub_u32_e64 v7, v4, v7 clamp
	v_add_u32_e32 v8, 1, v1
	v_cmp_lt_u32_e32 vcc, v8, v7
	s_waitcnt lgkmcnt(0)
	v_add_f32_e32 v6, v3, v6
	v_cndmask_b32_e32 v3, v3, v6, vcc
	v_cmp_gt_u32_e32 vcc, 62, v5
	v_cndmask_b32_e64 v6, 0, 1, vcc
	v_lshlrev_b32_e32 v6, 1, v6
	v_add_lshl_u32 v6, v6, v1, 2
	ds_bpermute_b32 v6, v6, v3
	v_add_u32_e32 v8, 2, v1
	v_cmp_lt_u32_e32 vcc, v8, v7
	v_add_u32_e32 v8, 4, v1
	s_waitcnt lgkmcnt(0)
	v_add_f32_e32 v6, v3, v6
	v_cndmask_b32_e32 v3, v3, v6, vcc
	v_cmp_gt_u32_e32 vcc, 60, v5
	v_cndmask_b32_e64 v6, 0, 1, vcc
	v_lshlrev_b32_e32 v6, 2, v6
	v_add_lshl_u32 v6, v6, v1, 2
	ds_bpermute_b32 v6, v6, v3
	v_cmp_lt_u32_e32 vcc, v8, v7
	v_add_u32_e32 v8, 8, v1
	s_waitcnt lgkmcnt(0)
	v_add_f32_e32 v6, v3, v6
	v_cndmask_b32_e32 v3, v3, v6, vcc
	v_cmp_gt_u32_e32 vcc, 56, v5
	v_cndmask_b32_e64 v6, 0, 1, vcc
	v_lshlrev_b32_e32 v6, 3, v6
	v_add_lshl_u32 v6, v6, v1, 2
	ds_bpermute_b32 v6, v6, v3
	;; [unrolled: 10-line block ×3, first 2 shown]
	v_cmp_lt_u32_e32 vcc, v8, v7
	s_waitcnt lgkmcnt(0)
	v_add_f32_e32 v6, v3, v6
	v_cndmask_b32_e32 v3, v3, v6, vcc
	v_cmp_gt_u32_e32 vcc, 32, v5
	v_cndmask_b32_e64 v5, 0, 1, vcc
	v_lshlrev_b32_e32 v5, 5, v5
	v_add_lshl_u32 v5, v5, v1, 2
	ds_bpermute_b32 v5, v5, v3
	v_add_u32_e32 v6, 32, v1
	v_cmp_lt_u32_e32 vcc, v6, v7
	s_waitcnt lgkmcnt(0)
	v_add_f32_e32 v5, v3, v5
	v_cndmask_b32_e32 v3, v3, v5, vcc
	v_cmp_eq_u32_e32 vcc, 0, v1
	s_and_saveexec_b64 s[2:3], vcc
	s_cbranch_execz .LBB46_8
; %bb.7:
	v_lshrrev_b32_e32 v5, 4, v0
	v_and_b32_e32 v5, 60, v5
	ds_write_b32 v5, v3
.LBB46_8:
	s_or_b64 exec, exec, s[2:3]
	v_cmp_gt_u32_e32 vcc, 16, v0
	s_waitcnt lgkmcnt(0)
	s_barrier
	s_and_saveexec_b64 s[14:15], vcc
	s_cbranch_execz .LBB46_10
; %bb.9:
	v_lshlrev_b32_e32 v3, 2, v1
	ds_read_b32 v3, v3
	v_and_b32_e32 v5, 15, v1
	v_cmp_ne_u32_e32 vcc, 15, v5
	v_addc_co_u32_e32 v6, vcc, 0, v1, vcc
	v_lshlrev_b32_e32 v6, 2, v6
	s_waitcnt lgkmcnt(0)
	ds_bpermute_b32 v6, v6, v3
	v_add_u32_e32 v7, 63, v4
	v_lshrrev_b32_e32 v7, 6, v7
	v_add_u32_e32 v8, 1, v5
	v_cmp_gt_u32_e64 s[2:3], 14, v5
	v_cmp_lt_u32_e32 vcc, v8, v7
	v_cndmask_b32_e64 v8, 0, 1, s[2:3]
	s_waitcnt lgkmcnt(0)
	v_add_f32_e32 v6, v3, v6
	v_lshlrev_b32_e32 v8, 1, v8
	v_cndmask_b32_e32 v6, v3, v6, vcc
	v_add_lshl_u32 v8, v8, v1, 2
	ds_bpermute_b32 v8, v8, v6
	v_add_u32_e32 v9, 2, v5
	v_cmp_lt_u32_e64 s[2:3], v9, v7
	v_add_u32_e32 v9, 4, v5
	s_waitcnt lgkmcnt(0)
	v_add_f32_e32 v8, v6, v8
	v_cndmask_b32_e64 v6, v6, v8, s[2:3]
	v_cmp_gt_u32_e64 s[2:3], 12, v5
	v_cndmask_b32_e64 v8, 0, 1, s[2:3]
	v_lshlrev_b32_e32 v8, 2, v8
	v_add_lshl_u32 v8, v8, v1, 2
	ds_bpermute_b32 v8, v8, v6
	v_cmp_lt_u32_e64 s[2:3], v9, v7
	s_waitcnt lgkmcnt(0)
	v_add_f32_e32 v8, v6, v8
	v_cndmask_b32_e64 v6, v6, v8, s[2:3]
	v_cmp_gt_u32_e64 s[2:3], 8, v5
	v_cndmask_b32_e64 v8, 0, 1, s[2:3]
	v_lshlrev_b32_e32 v8, 3, v8
	v_add_lshl_u32 v1, v8, v1, 2
	ds_bpermute_b32 v1, v1, v6
	v_add_u32_e32 v5, 8, v5
	v_cmp_lt_u32_e64 s[2:3], v5, v7
	s_waitcnt lgkmcnt(0)
	v_add_f32_e32 v1, v6, v1
	v_cndmask_b32_e64 v1, v6, v1, s[2:3]
	v_cndmask_b32_e32 v3, v3, v1, vcc
.LBB46_10:
	s_or_b64 exec, exec, s[14:15]
	v_cmp_eq_u32_e32 vcc, 0, v0
	s_and_saveexec_b64 s[2:3], vcc
	s_cbranch_execz .LBB46_12
; %bb.11:
	v_cvt_f32_i32_e32 v1, s20
	s_load_dword s7, s[4:5], 0x20
	v_div_scale_f32 v5, s[4:5], v1, v1, v3
	v_rcp_f32_e32 v6, v5
	v_div_scale_f32 v7, vcc, v3, v1, v3
	s_mov_b32 s4, 0x800000
	v_fma_f32 v8, -v5, v6, 1.0
	v_fmac_f32_e32 v6, v8, v6
	v_mul_f32_e32 v8, v7, v6
	v_fma_f32 v9, -v5, v8, v7
	v_fmac_f32_e32 v8, v9, v6
	v_fma_f32 v5, -v5, v8, v7
	v_div_fmas_f32 v5, v5, v6, v8
	v_div_fixup_f32 v1, v5, v1, v3
	s_waitcnt lgkmcnt(0)
	v_add_f32_e32 v1, s7, v1
	v_mul_f32_e32 v3, 0x4b800000, v1
	v_cmp_gt_f32_e32 vcc, s4, v1
	v_cndmask_b32_e32 v1, v1, v3, vcc
	v_rsq_f32_e32 v1, v1
	v_mul_f32_e32 v3, 0x45800000, v1
	v_cndmask_b32_e32 v1, v1, v3, vcc
	v_mov_b32_e32 v3, 0
	ds_write_b32 v3, v1 offset:64
.LBB46_12:
	s_or_b64 exec, exec, s[2:3]
	s_waitcnt lgkmcnt(0)
	s_barrier
	s_and_saveexec_b64 s[2:3], s[0:1]
	s_cbranch_execz .LBB46_15
; %bb.13:
	v_mov_b32_e32 v1, 0
	s_add_i32 s7, s19, s18
	ds_read_b32 v6, v1 offset:64
	s_lshl_b64 s[0:1], s[6:7], 4
	s_add_u32 s2, s8, s0
	s_addc_u32 s4, s9, s1
	s_add_u32 s3, s10, 8
	v_mov_b32_e32 v5, v1
	s_addc_u32 s5, s11, 0
	s_waitcnt lgkmcnt(0)
	v_mov_b32_e32 v7, v6
	v_lshlrev_b64 v[8:9], 4, v[4:5]
	s_mov_b64 s[0:1], 0
	v_mov_b32_e32 v3, s13
	v_mov_b32_e32 v5, s5
	v_mov_b32_e32 v12, s4
	v_mov_b32_e32 v10, v6
	v_mov_b32_e32 v11, v6
.LBB46_14:                              ; =>This Inner Loop Header: Depth=1
	v_add_u32_e32 v14, s17, v0
	v_ashrrev_i32_e32 v15, 31, v14
	v_lshlrev_b64 v[14:15], 4, v[14:15]
	v_add_co_u32_e32 v14, vcc, s12, v14
	v_addc_co_u32_e32 v15, vcc, v3, v15, vcc
	global_load_dwordx4 v[14:17], v[14:15], off
	v_add_co_u32_e32 v18, vcc, s3, v2
	v_addc_co_u32_e32 v19, vcc, v5, v1, vcc
	global_load_dwordx4 v[18:21], v[18:19], off offset:-8
	v_add_co_u32_e32 v22, vcc, s2, v2
	v_addc_co_u32_e32 v23, vcc, v12, v1, vcc
	v_add_co_u32_e32 v2, vcc, v2, v8
	v_add_u32_e32 v0, v0, v4
	v_addc_co_u32_e32 v1, vcc, v1, v9, vcc
	v_cmp_le_i32_e32 vcc, s16, v0
	s_or_b64 s[0:1], vcc, s[0:1]
	s_waitcnt vmcnt(1)
	v_cvt_f32_f16_e32 v24, v14
	v_cvt_f32_f16_sdwa v25, v14 dst_sel:DWORD dst_unused:UNUSED_PAD src0_sel:WORD_1
	v_cvt_f32_f16_e32 v14, v15
	v_cvt_f32_f16_sdwa v15, v15 dst_sel:DWORD dst_unused:UNUSED_PAD src0_sel:WORD_1
	v_cvt_f32_f16_e32 v26, v16
	v_cvt_f32_f16_e32 v28, v17
	v_cvt_f32_f16_sdwa v29, v17 dst_sel:DWORD dst_unused:UNUSED_PAD src0_sel:WORD_1
	v_cvt_f32_f16_sdwa v27, v16 dst_sel:DWORD dst_unused:UNUSED_PAD src0_sel:WORD_1
	v_pk_mul_f32 v[14:15], v[10:11], v[14:15]
	v_pk_mul_f32 v[16:17], v[6:7], v[24:25]
	;; [unrolled: 1-line block ×4, first 2 shown]
	v_cvt_f16_f32_e32 v13, v17
	v_cvt_f16_f32_e32 v16, v16
	;; [unrolled: 1-line block ×8, first 2 shown]
	v_pack_b32_f16 v14, v14, v15
	v_pack_b32_f16 v13, v16, v13
	;; [unrolled: 1-line block ×4, first 2 shown]
	s_waitcnt vmcnt(0)
	v_pk_mul_f16 v15, v19, v14
	v_pk_mul_f16 v14, v18, v13
	;; [unrolled: 1-line block ×4, first 2 shown]
	global_store_dwordx4 v[22:23], v[14:17], off
	s_andn2_b64 exec, exec, s[0:1]
	s_cbranch_execnz .LBB46_14
.LBB46_15:
	s_endpgm
	.section	.rodata,"a",@progbits
	.p2align	6, 0x0
	.amdhsa_kernel _ZN4vllm25fused_add_rms_norm_kernelIN3c104HalfELi8EEENSt9enable_ifIXaagtT0_Li0Esr12_typeConvertIT_EE6existsEvE4typeEPS4_lS7_PKS4_fii
		.amdhsa_group_segment_fixed_size 68
		.amdhsa_private_segment_fixed_size 0
		.amdhsa_kernarg_size 304
		.amdhsa_user_sgpr_count 6
		.amdhsa_user_sgpr_private_segment_buffer 1
		.amdhsa_user_sgpr_dispatch_ptr 0
		.amdhsa_user_sgpr_queue_ptr 0
		.amdhsa_user_sgpr_kernarg_segment_ptr 1
		.amdhsa_user_sgpr_dispatch_id 0
		.amdhsa_user_sgpr_flat_scratch_init 0
		.amdhsa_user_sgpr_kernarg_preload_length 0
		.amdhsa_user_sgpr_kernarg_preload_offset 0
		.amdhsa_user_sgpr_private_segment_size 0
		.amdhsa_uses_dynamic_stack 0
		.amdhsa_system_sgpr_private_segment_wavefront_offset 0
		.amdhsa_system_sgpr_workgroup_id_x 1
		.amdhsa_system_sgpr_workgroup_id_y 0
		.amdhsa_system_sgpr_workgroup_id_z 0
		.amdhsa_system_sgpr_workgroup_info 0
		.amdhsa_system_vgpr_workitem_id 0
		.amdhsa_next_free_vgpr 30
		.amdhsa_next_free_sgpr 23
		.amdhsa_accum_offset 32
		.amdhsa_reserve_vcc 1
		.amdhsa_reserve_flat_scratch 0
		.amdhsa_float_round_mode_32 0
		.amdhsa_float_round_mode_16_64 0
		.amdhsa_float_denorm_mode_32 3
		.amdhsa_float_denorm_mode_16_64 3
		.amdhsa_dx10_clamp 1
		.amdhsa_ieee_mode 1
		.amdhsa_fp16_overflow 0
		.amdhsa_tg_split 0
		.amdhsa_exception_fp_ieee_invalid_op 0
		.amdhsa_exception_fp_denorm_src 0
		.amdhsa_exception_fp_ieee_div_zero 0
		.amdhsa_exception_fp_ieee_overflow 0
		.amdhsa_exception_fp_ieee_underflow 0
		.amdhsa_exception_fp_ieee_inexact 0
		.amdhsa_exception_int_div_zero 0
	.end_amdhsa_kernel
	.section	.text._ZN4vllm25fused_add_rms_norm_kernelIN3c104HalfELi8EEENSt9enable_ifIXaagtT0_Li0Esr12_typeConvertIT_EE6existsEvE4typeEPS4_lS7_PKS4_fii,"axG",@progbits,_ZN4vllm25fused_add_rms_norm_kernelIN3c104HalfELi8EEENSt9enable_ifIXaagtT0_Li0Esr12_typeConvertIT_EE6existsEvE4typeEPS4_lS7_PKS4_fii,comdat
.Lfunc_end46:
	.size	_ZN4vllm25fused_add_rms_norm_kernelIN3c104HalfELi8EEENSt9enable_ifIXaagtT0_Li0Esr12_typeConvertIT_EE6existsEvE4typeEPS4_lS7_PKS4_fii, .Lfunc_end46-_ZN4vllm25fused_add_rms_norm_kernelIN3c104HalfELi8EEENSt9enable_ifIXaagtT0_Li0Esr12_typeConvertIT_EE6existsEvE4typeEPS4_lS7_PKS4_fii
                                        ; -- End function
	.section	.AMDGPU.csdata,"",@progbits
; Kernel info:
; codeLenInByte = 1656
; NumSgprs: 27
; NumVgprs: 30
; NumAgprs: 0
; TotalNumVgprs: 30
; ScratchSize: 0
; MemoryBound: 0
; FloatMode: 240
; IeeeMode: 1
; LDSByteSize: 68 bytes/workgroup (compile time only)
; SGPRBlocks: 3
; VGPRBlocks: 3
; NumSGPRsForWavesPerEU: 27
; NumVGPRsForWavesPerEU: 30
; AccumOffset: 32
; Occupancy: 8
; WaveLimiterHint : 0
; COMPUTE_PGM_RSRC2:SCRATCH_EN: 0
; COMPUTE_PGM_RSRC2:USER_SGPR: 6
; COMPUTE_PGM_RSRC2:TRAP_HANDLER: 0
; COMPUTE_PGM_RSRC2:TGID_X_EN: 1
; COMPUTE_PGM_RSRC2:TGID_Y_EN: 0
; COMPUTE_PGM_RSRC2:TGID_Z_EN: 0
; COMPUTE_PGM_RSRC2:TIDIG_COMP_CNT: 0
; COMPUTE_PGM_RSRC3_GFX90A:ACCUM_OFFSET: 7
; COMPUTE_PGM_RSRC3_GFX90A:TG_SPLIT: 0
	.section	.text._ZN4vllm25fused_add_rms_norm_kernelIN3c108BFloat16ELi8EEENSt9enable_ifIXaagtT0_Li0Esr12_typeConvertIT_EE6existsEvE4typeEPS4_lS7_PKS4_fii,"axG",@progbits,_ZN4vllm25fused_add_rms_norm_kernelIN3c108BFloat16ELi8EEENSt9enable_ifIXaagtT0_Li0Esr12_typeConvertIT_EE6existsEvE4typeEPS4_lS7_PKS4_fii,comdat
	.protected	_ZN4vllm25fused_add_rms_norm_kernelIN3c108BFloat16ELi8EEENSt9enable_ifIXaagtT0_Li0Esr12_typeConvertIT_EE6existsEvE4typeEPS4_lS7_PKS4_fii ; -- Begin function _ZN4vllm25fused_add_rms_norm_kernelIN3c108BFloat16ELi8EEENSt9enable_ifIXaagtT0_Li0Esr12_typeConvertIT_EE6existsEvE4typeEPS4_lS7_PKS4_fii
	.globl	_ZN4vllm25fused_add_rms_norm_kernelIN3c108BFloat16ELi8EEENSt9enable_ifIXaagtT0_Li0Esr12_typeConvertIT_EE6existsEvE4typeEPS4_lS7_PKS4_fii
	.p2align	8
	.type	_ZN4vllm25fused_add_rms_norm_kernelIN3c108BFloat16ELi8EEENSt9enable_ifIXaagtT0_Li0Esr12_typeConvertIT_EE6existsEvE4typeEPS4_lS7_PKS4_fii,@function
_ZN4vllm25fused_add_rms_norm_kernelIN3c108BFloat16ELi8EEENSt9enable_ifIXaagtT0_Li0Esr12_typeConvertIT_EE6existsEvE4typeEPS4_lS7_PKS4_fii: ; @_ZN4vllm25fused_add_rms_norm_kernelIN3c108BFloat16ELi8EEENSt9enable_ifIXaagtT0_Li0Esr12_typeConvertIT_EE6existsEvE4typeEPS4_lS7_PKS4_fii
; %bb.0:
	s_load_dword s22, s[4:5], 0x28
	s_load_dwordx4 s[8:11], s[4:5], 0x0
	s_load_dwordx2 s[12:13], s[4:5], 0x10
	s_mov_b32 s7, 0
                                        ; implicit-def: $sgpr16
                                        ; implicit-def: $sgpr17
	s_waitcnt lgkmcnt(0)
	s_ashr_i32 s0, s22, 31
	s_lshr_b32 s0, s0, 29
	s_add_i32 s0, s22, s0
	s_ashr_i32 s20, s0, 3
	s_ashr_i32 s0, s11, 31
	s_lshr_b32 s0, s0, 29
	s_add_u32 s14, s10, s0
	s_addc_u32 s15, s11, 0
	v_cmp_gt_i32_e64 s[0:1], s20, v0
	v_cmp_le_i32_e32 vcc, s20, v0
	s_and_saveexec_b64 s[2:3], vcc
	s_xor_b64 s[2:3], exec, s[2:3]
	s_cbranch_execz .LBB47_2
; %bb.1:
	s_load_dword s16, s[4:5], 0x3c
	s_waitcnt lgkmcnt(0)
	s_and_b32 s17, s16, 0xffff
.LBB47_2:
	s_or_saveexec_b64 s[2:3], s[2:3]
	s_load_dwordx2 s[10:11], s[4:5], 0x18
	s_ashr_i64 s[14:15], s[14:15], 3
	v_mov_b32_e32 v1, s7
	v_mov_b32_e32 v2, s16
	;; [unrolled: 1-line block ×3, first 2 shown]
	s_mul_i32 s21, s20, s6
	s_mul_i32 s18, s15, s6
	s_mul_hi_u32 s19, s14, s6
	s_mul_i32 s6, s14, s6
	s_xor_b64 exec, exec, s[2:3]
	s_cbranch_execz .LBB47_38
; %bb.3:
	s_load_dword s23, s[4:5], 0x3c
	s_add_i32 s7, s19, s18
	s_lshl_b64 s[14:15], s[6:7], 4
	v_lshlrev_b32_e32 v1, 4, v0
	s_mov_b32 s24, 0
	s_waitcnt lgkmcnt(0)
	s_and_b32 s7, s23, 0xffff
	s_add_u32 s14, s8, s14
	s_addc_u32 s15, s9, s15
	v_mov_b32_e32 v2, s15
	v_add_co_u32_e32 v1, vcc, s14, v1
	v_addc_co_u32_e32 v2, vcc, 0, v2, vcc
	v_add_co_u32_e32 v6, vcc, 14, v1
	v_addc_co_u32_e32 v7, vcc, 0, v2, vcc
	s_lshl_b32 s25, s7, 4
	s_mov_b64 s[14:15], 0
	v_mov_b32_e32 v12, 0
	v_mov_b32_e32 v13, s13
	s_mov_b32 s26, 0x7f800000
	s_movk_i32 s27, 0x7fff
	s_mov_b32 s28, 0x7060302
	v_mov_b32_e32 v1, 0
	v_mov_b32_e32 v14, v0
	s_branch .LBB47_5
.LBB47_4:                               ;   in Loop: Header=BB47_5 Depth=1
	s_or_b64 exec, exec, s[16:17]
	v_and_b32_e32 v21, 0xffff0000, v10
	v_and_b32_e32 v20, 0xffff0000, v16
	;; [unrolled: 1-line block ×4, first 2 shown]
	v_pk_mul_f32 v[20:21], v[20:21], v[20:21]
	v_and_b32_e32 v23, 0xffff0000, v5
	v_and_b32_e32 v22, 0xffff0000, v4
	v_pk_fma_f32 v[2:3], v[2:3], v[2:3], v[20:21]
	v_and_b32_e32 v21, 0xffff0000, v18
	v_and_b32_e32 v20, 0xffff0000, v11
	v_pk_mul_f32 v[22:23], v[22:23], v[22:23]
	v_pk_fma_f32 v[20:21], v[20:21], v[20:21], v[22:23]
	v_add_f32_e32 v2, v2, v3
	v_add_f32_e32 v2, v2, v20
	;; [unrolled: 1-line block ×3, first 2 shown]
	v_add_u32_e32 v14, s7, v14
	v_add_f32_e32 v1, v1, v2
	v_perm_b32 v5, v5, v18, s28
	v_perm_b32 v4, v4, v11, s28
	;; [unrolled: 1-line block ×4, first 2 shown]
	v_cmp_le_i32_e32 vcc, s20, v14
	global_store_dwordx4 v[8:9], v[2:5], off
	s_or_b64 s[14:15], vcc, s[14:15]
	v_mov_b32_e32 v2, s24
	v_add_co_u32_e32 v6, vcc, s25, v6
	v_addc_co_u32_e32 v7, vcc, v7, v2, vcc
	s_andn2_b64 exec, exec, s[14:15]
	s_cbranch_execz .LBB47_37
.LBB47_5:                               ; =>This Inner Loop Header: Depth=1
	v_add_u32_e32 v2, s21, v14
	v_ashrrev_i32_e32 v3, 31, v2
	v_lshlrev_b64 v[2:3], 4, v[2:3]
	v_add_co_u32_e32 v8, vcc, s12, v2
	v_addc_co_u32_e32 v9, vcc, v13, v3, vcc
	global_load_dword v16, v[8:9], off
	global_load_dwordx4 v[2:5], v[6:7], off offset:-14
                                        ; implicit-def: $vgpr15
	s_waitcnt vmcnt(1)
	v_lshlrev_b32_e32 v10, 16, v16
	s_waitcnt vmcnt(0)
	v_lshlrev_b32_e32 v18, 16, v2
	v_pk_add_f32 v[10:11], v[10:11], v[18:19] op_sel_hi:[0,1]
	v_and_b32_e32 v11, 0x7f800000, v10
	v_cmp_ne_u32_e32 vcc, s26, v11
	s_and_saveexec_b64 s[16:17], vcc
	s_xor_b64 s[16:17], exec, s[16:17]
; %bb.6:                                ;   in Loop: Header=BB47_5 Depth=1
	v_bfe_u32 v11, v10, 16, 1
	v_add3_u32 v15, v10, v11, s27
                                        ; implicit-def: $vgpr10_vgpr11
; %bb.7:                                ;   in Loop: Header=BB47_5 Depth=1
	s_andn2_saveexec_b64 s[16:17], s[16:17]
; %bb.8:                                ;   in Loop: Header=BB47_5 Depth=1
	v_or_b32_e32 v11, 0x10000, v10
	v_cmp_eq_u32_sdwa vcc, v10, v12 src0_sel:WORD_0 src1_sel:DWORD
	v_cndmask_b32_e32 v15, v11, v10, vcc
; %bb.9:                                ;   in Loop: Header=BB47_5 Depth=1
	s_or_b64 exec, exec, s[16:17]
	v_and_b32_e32 v10, 0xffff0000, v16
	v_and_b32_e32 v2, 0xffff0000, v2
	v_pk_add_f32 v[10:11], v[10:11], v[2:3] op_sel_hi:[0,1]
	v_and_b32_e32 v2, 0x7f800000, v10
	v_cmp_ne_u32_e32 vcc, s26, v2
                                        ; implicit-def: $vgpr16
	s_and_saveexec_b64 s[16:17], vcc
	s_xor_b64 s[16:17], exec, s[16:17]
; %bb.10:                               ;   in Loop: Header=BB47_5 Depth=1
	v_bfe_u32 v2, v10, 16, 1
	v_add3_u32 v16, v10, v2, s27
                                        ; implicit-def: $vgpr10_vgpr11
; %bb.11:                               ;   in Loop: Header=BB47_5 Depth=1
	s_andn2_saveexec_b64 s[16:17], s[16:17]
; %bb.12:                               ;   in Loop: Header=BB47_5 Depth=1
	v_or_b32_e32 v2, 0x10000, v10
	v_cmp_eq_u32_sdwa vcc, v10, v12 src0_sel:WORD_0 src1_sel:DWORD
	v_cndmask_b32_e32 v16, v2, v10, vcc
; %bb.13:                               ;   in Loop: Header=BB47_5 Depth=1
	s_or_b64 exec, exec, s[16:17]
	global_load_dword v2, v[8:9], off offset:4
	v_lshlrev_b32_e32 v18, 16, v3
                                        ; implicit-def: $vgpr17
	s_waitcnt vmcnt(0)
	v_lshlrev_b32_e32 v10, 16, v2
	v_pk_add_f32 v[10:11], v[10:11], v[18:19] op_sel_hi:[0,1]
	v_and_b32_e32 v11, 0x7f800000, v10
	v_cmp_ne_u32_e32 vcc, s26, v11
	s_and_saveexec_b64 s[16:17], vcc
	s_xor_b64 s[16:17], exec, s[16:17]
; %bb.14:                               ;   in Loop: Header=BB47_5 Depth=1
	v_bfe_u32 v11, v10, 16, 1
	v_add3_u32 v17, v10, v11, s27
                                        ; implicit-def: $vgpr10_vgpr11
; %bb.15:                               ;   in Loop: Header=BB47_5 Depth=1
	s_andn2_saveexec_b64 s[16:17], s[16:17]
; %bb.16:                               ;   in Loop: Header=BB47_5 Depth=1
	v_or_b32_e32 v11, 0x10000, v10
	v_cmp_eq_u32_sdwa vcc, v10, v12 src0_sel:WORD_0 src1_sel:DWORD
	v_cndmask_b32_e32 v17, v11, v10, vcc
; %bb.17:                               ;   in Loop: Header=BB47_5 Depth=1
	s_or_b64 exec, exec, s[16:17]
	v_and_b32_e32 v2, 0xffff0000, v2
	v_and_b32_e32 v10, 0xffff0000, v3
	v_pk_add_f32 v[2:3], v[2:3], v[10:11] op_sel_hi:[0,1]
	v_and_b32_e32 v3, 0x7f800000, v2
	v_cmp_ne_u32_e32 vcc, s26, v3
                                        ; implicit-def: $vgpr10
	s_and_saveexec_b64 s[16:17], vcc
	s_xor_b64 s[16:17], exec, s[16:17]
; %bb.18:                               ;   in Loop: Header=BB47_5 Depth=1
	v_bfe_u32 v3, v2, 16, 1
	v_add3_u32 v10, v2, v3, s27
                                        ; implicit-def: $vgpr2_vgpr3
; %bb.19:                               ;   in Loop: Header=BB47_5 Depth=1
	s_andn2_saveexec_b64 s[16:17], s[16:17]
; %bb.20:                               ;   in Loop: Header=BB47_5 Depth=1
	v_or_b32_e32 v3, 0x10000, v2
	v_cmp_eq_u32_sdwa vcc, v2, v12 src0_sel:WORD_0 src1_sel:DWORD
	v_cndmask_b32_e32 v10, v3, v2, vcc
; %bb.21:                               ;   in Loop: Header=BB47_5 Depth=1
	s_or_b64 exec, exec, s[16:17]
	global_load_dword v18, v[8:9], off offset:8
	v_lshlrev_b32_e32 v20, 16, v4
                                        ; implicit-def: $vgpr11
	s_waitcnt vmcnt(0)
	v_lshlrev_b32_e32 v2, 16, v18
	v_pk_add_f32 v[2:3], v[2:3], v[20:21] op_sel_hi:[0,1]
	v_and_b32_e32 v3, 0x7f800000, v2
	v_cmp_ne_u32_e32 vcc, s26, v3
	s_and_saveexec_b64 s[16:17], vcc
	s_xor_b64 s[16:17], exec, s[16:17]
; %bb.22:                               ;   in Loop: Header=BB47_5 Depth=1
	v_bfe_u32 v3, v2, 16, 1
	v_add3_u32 v11, v2, v3, s27
                                        ; implicit-def: $vgpr2_vgpr3
; %bb.23:                               ;   in Loop: Header=BB47_5 Depth=1
	s_andn2_saveexec_b64 s[16:17], s[16:17]
; %bb.24:                               ;   in Loop: Header=BB47_5 Depth=1
	v_or_b32_e32 v3, 0x10000, v2
	v_cmp_eq_u32_sdwa vcc, v2, v12 src0_sel:WORD_0 src1_sel:DWORD
	v_cndmask_b32_e32 v11, v3, v2, vcc
; %bb.25:                               ;   in Loop: Header=BB47_5 Depth=1
	s_or_b64 exec, exec, s[16:17]
	v_and_b32_e32 v2, 0xffff0000, v18
	v_and_b32_e32 v4, 0xffff0000, v4
	v_pk_add_f32 v[2:3], v[2:3], v[4:5] op_sel_hi:[0,1]
	v_and_b32_e32 v3, 0x7f800000, v2
	v_cmp_ne_u32_e32 vcc, s26, v3
                                        ; implicit-def: $vgpr4
	s_and_saveexec_b64 s[16:17], vcc
	s_xor_b64 s[16:17], exec, s[16:17]
; %bb.26:                               ;   in Loop: Header=BB47_5 Depth=1
	v_bfe_u32 v3, v2, 16, 1
	v_add3_u32 v4, v2, v3, s27
                                        ; implicit-def: $vgpr2_vgpr3
; %bb.27:                               ;   in Loop: Header=BB47_5 Depth=1
	s_andn2_saveexec_b64 s[16:17], s[16:17]
; %bb.28:                               ;   in Loop: Header=BB47_5 Depth=1
	v_or_b32_e32 v3, 0x10000, v2
	v_cmp_eq_u32_sdwa vcc, v2, v12 src0_sel:WORD_0 src1_sel:DWORD
	v_cndmask_b32_e32 v4, v3, v2, vcc
; %bb.29:                               ;   in Loop: Header=BB47_5 Depth=1
	s_or_b64 exec, exec, s[16:17]
	global_load_dword v19, v[8:9], off offset:12
	v_lshlrev_b32_e32 v18, 16, v5
	s_waitcnt vmcnt(0)
	v_lshlrev_b32_e32 v2, 16, v19
	v_pk_add_f32 v[2:3], v[2:3], v[18:19] op_sel_hi:[0,1]
	v_and_b32_e32 v3, 0x7f800000, v2
	v_cmp_ne_u32_e32 vcc, s26, v3
                                        ; implicit-def: $vgpr18
	s_and_saveexec_b64 s[16:17], vcc
	s_xor_b64 s[16:17], exec, s[16:17]
; %bb.30:                               ;   in Loop: Header=BB47_5 Depth=1
	v_bfe_u32 v3, v2, 16, 1
	v_add3_u32 v18, v2, v3, s27
                                        ; implicit-def: $vgpr2_vgpr3
; %bb.31:                               ;   in Loop: Header=BB47_5 Depth=1
	s_andn2_saveexec_b64 s[16:17], s[16:17]
; %bb.32:                               ;   in Loop: Header=BB47_5 Depth=1
	v_or_b32_e32 v3, 0x10000, v2
	v_cmp_eq_u32_sdwa vcc, v2, v12 src0_sel:WORD_0 src1_sel:DWORD
	v_cndmask_b32_e32 v18, v3, v2, vcc
; %bb.33:                               ;   in Loop: Header=BB47_5 Depth=1
	s_or_b64 exec, exec, s[16:17]
	v_and_b32_e32 v2, 0xffff0000, v19
	v_and_b32_e32 v20, 0xffff0000, v5
	v_pk_add_f32 v[2:3], v[2:3], v[20:21] op_sel_hi:[0,1]
	v_and_b32_e32 v3, 0x7f800000, v2
	v_cmp_ne_u32_e32 vcc, s26, v3
                                        ; implicit-def: $vgpr5
	s_and_saveexec_b64 s[16:17], vcc
	s_xor_b64 s[16:17], exec, s[16:17]
; %bb.34:                               ;   in Loop: Header=BB47_5 Depth=1
	v_bfe_u32 v3, v2, 16, 1
	v_add3_u32 v5, v2, v3, s27
                                        ; implicit-def: $vgpr2_vgpr3
; %bb.35:                               ;   in Loop: Header=BB47_5 Depth=1
	s_andn2_saveexec_b64 s[16:17], s[16:17]
	s_cbranch_execz .LBB47_4
; %bb.36:                               ;   in Loop: Header=BB47_5 Depth=1
	v_or_b32_e32 v3, 0x10000, v2
	v_cmp_eq_u32_sdwa vcc, v2, v12 src0_sel:WORD_0 src1_sel:DWORD
	v_cndmask_b32_e32 v5, v3, v2, vcc
	s_branch .LBB47_4
.LBB47_37:
	s_or_b64 exec, exec, s[14:15]
	v_mov_b32_e32 v2, s23
	v_mov_b32_e32 v18, s7
.LBB47_38:
	s_or_b64 exec, exec, s[2:3]
	v_mbcnt_lo_u32_b32 v3, -1, 0
	v_mbcnt_hi_u32_b32 v3, -1, v3
	v_and_b32_e32 v4, 63, v3
	v_cmp_ne_u32_e32 vcc, 63, v4
	v_addc_co_u32_e32 v5, vcc, 0, v3, vcc
	v_lshlrev_b32_e32 v5, 2, v5
	ds_bpermute_b32 v5, v5, v1
	v_and_b32_e32 v6, 0x3c0, v0
	v_sub_u32_e64 v6, v18, v6 clamp
	v_add_u32_e32 v7, 1, v3
	v_cmp_lt_u32_e32 vcc, v7, v6
	s_waitcnt lgkmcnt(0)
	v_add_f32_e32 v5, v1, v5
	v_cndmask_b32_e32 v1, v1, v5, vcc
	v_cmp_gt_u32_e32 vcc, 62, v4
	v_cndmask_b32_e64 v5, 0, 1, vcc
	v_lshlrev_b32_e32 v5, 1, v5
	v_add_lshl_u32 v5, v5, v3, 2
	ds_bpermute_b32 v5, v5, v1
	v_add_u32_e32 v7, 2, v3
	v_cmp_lt_u32_e32 vcc, v7, v6
	v_add_u32_e32 v7, 4, v3
	s_waitcnt lgkmcnt(0)
	v_add_f32_e32 v5, v1, v5
	v_cndmask_b32_e32 v1, v1, v5, vcc
	v_cmp_gt_u32_e32 vcc, 60, v4
	v_cndmask_b32_e64 v5, 0, 1, vcc
	v_lshlrev_b32_e32 v5, 2, v5
	v_add_lshl_u32 v5, v5, v3, 2
	ds_bpermute_b32 v5, v5, v1
	v_cmp_lt_u32_e32 vcc, v7, v6
	v_add_u32_e32 v7, 8, v3
	s_waitcnt lgkmcnt(0)
	v_add_f32_e32 v5, v1, v5
	v_cndmask_b32_e32 v1, v1, v5, vcc
	v_cmp_gt_u32_e32 vcc, 56, v4
	v_cndmask_b32_e64 v5, 0, 1, vcc
	v_lshlrev_b32_e32 v5, 3, v5
	v_add_lshl_u32 v5, v5, v3, 2
	ds_bpermute_b32 v5, v5, v1
	v_cmp_lt_u32_e32 vcc, v7, v6
	v_add_u32_e32 v7, 16, v3
	s_waitcnt lgkmcnt(0)
	v_add_f32_e32 v5, v1, v5
	v_cndmask_b32_e32 v1, v1, v5, vcc
	v_cmp_gt_u32_e32 vcc, 48, v4
	v_cndmask_b32_e64 v5, 0, 1, vcc
	v_lshlrev_b32_e32 v5, 4, v5
	v_add_lshl_u32 v5, v5, v3, 2
	ds_bpermute_b32 v5, v5, v1
	v_cmp_lt_u32_e32 vcc, v7, v6
	s_waitcnt lgkmcnt(0)
	v_add_f32_e32 v5, v1, v5
	v_cndmask_b32_e32 v1, v1, v5, vcc
	v_cmp_gt_u32_e32 vcc, 32, v4
	v_cndmask_b32_e64 v4, 0, 1, vcc
	v_lshlrev_b32_e32 v4, 5, v4
	v_add_lshl_u32 v4, v4, v3, 2
	ds_bpermute_b32 v4, v4, v1
	v_add_u32_e32 v5, 32, v3
	v_cmp_lt_u32_e32 vcc, v5, v6
	s_waitcnt lgkmcnt(0)
	v_add_f32_e32 v4, v1, v4
	v_cndmask_b32_e32 v1, v1, v4, vcc
	v_cmp_eq_u32_e32 vcc, 0, v3
	s_and_saveexec_b64 s[2:3], vcc
	s_cbranch_execz .LBB47_40
; %bb.39:
	v_lshrrev_b32_e32 v4, 4, v0
	v_and_b32_e32 v4, 60, v4
	ds_write_b32 v4, v1
.LBB47_40:
	s_or_b64 exec, exec, s[2:3]
	v_cmp_gt_u32_e32 vcc, 16, v0
	s_waitcnt lgkmcnt(0)
	s_barrier
	s_and_saveexec_b64 s[14:15], vcc
	s_cbranch_execz .LBB47_42
; %bb.41:
	v_lshlrev_b32_e32 v1, 2, v3
	ds_read_b32 v1, v1
	v_and_b32_e32 v4, 15, v3
	v_cmp_ne_u32_e32 vcc, 15, v4
	v_addc_co_u32_e32 v5, vcc, 0, v3, vcc
	v_lshlrev_b32_e32 v5, 2, v5
	s_waitcnt lgkmcnt(0)
	ds_bpermute_b32 v5, v5, v1
	v_add_u32_e32 v6, 63, v18
	v_lshrrev_b32_e32 v6, 6, v6
	v_add_u32_e32 v7, 1, v4
	v_cmp_gt_u32_e64 s[2:3], 14, v4
	v_cmp_lt_u32_e32 vcc, v7, v6
	v_cndmask_b32_e64 v7, 0, 1, s[2:3]
	s_waitcnt lgkmcnt(0)
	v_add_f32_e32 v5, v1, v5
	v_lshlrev_b32_e32 v7, 1, v7
	v_cndmask_b32_e32 v5, v1, v5, vcc
	v_add_lshl_u32 v7, v7, v3, 2
	ds_bpermute_b32 v7, v7, v5
	v_add_u32_e32 v8, 2, v4
	v_cmp_lt_u32_e64 s[2:3], v8, v6
	v_add_u32_e32 v8, 4, v4
	s_waitcnt lgkmcnt(0)
	v_add_f32_e32 v7, v5, v7
	v_cndmask_b32_e64 v5, v5, v7, s[2:3]
	v_cmp_gt_u32_e64 s[2:3], 12, v4
	v_cndmask_b32_e64 v7, 0, 1, s[2:3]
	v_lshlrev_b32_e32 v7, 2, v7
	v_add_lshl_u32 v7, v7, v3, 2
	ds_bpermute_b32 v7, v7, v5
	v_cmp_lt_u32_e64 s[2:3], v8, v6
	s_waitcnt lgkmcnt(0)
	v_add_f32_e32 v7, v5, v7
	v_cndmask_b32_e64 v5, v5, v7, s[2:3]
	v_cmp_gt_u32_e64 s[2:3], 8, v4
	v_cndmask_b32_e64 v7, 0, 1, s[2:3]
	v_lshlrev_b32_e32 v7, 3, v7
	v_add_lshl_u32 v3, v7, v3, 2
	ds_bpermute_b32 v3, v3, v5
	v_add_u32_e32 v4, 8, v4
	v_cmp_lt_u32_e64 s[2:3], v4, v6
	s_waitcnt lgkmcnt(0)
	v_add_f32_e32 v3, v5, v3
	v_cndmask_b32_e64 v3, v5, v3, s[2:3]
	v_cndmask_b32_e32 v1, v1, v3, vcc
.LBB47_42:
	s_or_b64 exec, exec, s[14:15]
	v_cmp_eq_u32_e32 vcc, 0, v0
	s_and_saveexec_b64 s[2:3], vcc
	s_cbranch_execz .LBB47_44
; %bb.43:
	v_cvt_f32_i32_e32 v3, s22
	s_load_dword s7, s[4:5], 0x20
	v_div_scale_f32 v4, s[4:5], v3, v3, v1
	v_rcp_f32_e32 v5, v4
	v_div_scale_f32 v6, vcc, v1, v3, v1
	s_mov_b32 s4, 0x800000
	v_fma_f32 v7, -v4, v5, 1.0
	v_fmac_f32_e32 v5, v7, v5
	v_mul_f32_e32 v7, v6, v5
	v_fma_f32 v8, -v4, v7, v6
	v_fmac_f32_e32 v7, v8, v5
	v_fma_f32 v4, -v4, v7, v6
	v_div_fmas_f32 v4, v4, v5, v7
	v_div_fixup_f32 v1, v4, v3, v1
	s_waitcnt lgkmcnt(0)
	v_add_f32_e32 v1, s7, v1
	v_mul_f32_e32 v3, 0x4b800000, v1
	v_cmp_gt_f32_e32 vcc, s4, v1
	v_cndmask_b32_e32 v1, v1, v3, vcc
	v_rsq_f32_e32 v1, v1
	v_mul_f32_e32 v3, 0x45800000, v1
	v_cndmask_b32_e32 v1, v1, v3, vcc
	v_mov_b32_e32 v3, 0
	ds_write_b32 v3, v1 offset:64
.LBB47_44:
	s_or_b64 exec, exec, s[2:3]
	s_waitcnt lgkmcnt(0)
	s_barrier
	s_and_saveexec_b64 s[2:3], s[0:1]
	s_cbranch_execz .LBB47_118
; %bb.45:
	v_cvt_f32_u32_e32 v3, v18
	v_mov_b32_e32 v1, 0
	ds_read_b32 v20, v1 offset:64
	s_add_i32 s7, s19, s18
	v_rcp_iflag_f32_e32 v1, v3
	s_lshl_b64 s[0:1], s[6:7], 4
	s_add_u32 s8, s8, s0
	v_add_u32_e32 v3, v0, v18
	v_mul_f32_e32 v1, 0x4f7ffffe, v1
	v_cvt_u32_f32_e32 v1, v1
	s_addc_u32 s9, s9, s1
	v_cmp_gt_i32_e64 s[0:1], s20, v3
	v_max_i32_e32 v4, s20, v3
	v_addc_co_u32_e64 v3, vcc, v0, v18, s[0:1]
	v_sub_u32_e32 v3, v4, v3
	v_sub_u32_e32 v4, 0, v18
	v_mul_lo_u32 v4, v4, v1
	v_mul_hi_u32 v4, v1, v4
	v_add_u32_e32 v1, v1, v4
	v_mul_hi_u32 v1, v3, v1
	v_mul_lo_u32 v4, v1, v18
	v_sub_u32_e32 v3, v3, v4
	v_add_u32_e32 v4, 1, v1
	v_cmp_ge_u32_e32 vcc, v3, v18
	v_cndmask_b32_e32 v1, v1, v4, vcc
	v_sub_u32_e32 v4, v3, v18
	v_cndmask_b32_e32 v3, v3, v4, vcc
	v_add_u32_e32 v4, 1, v1
	v_cmp_ge_u32_e32 vcc, v3, v18
	v_cndmask_b32_e32 v1, v1, v4, vcc
	v_addc_co_u32_e64 v19, vcc, 1, v1, s[0:1]
	v_cmp_gt_u32_e32 vcc, 2, v19
	v_cmp_lt_u32_e64 s[2:3], 1, v19
	s_and_saveexec_b64 s[14:15], s[2:3]
	s_cbranch_execz .LBB47_51
; %bb.46:
	v_addc_co_u32_e64 v1, s[0:1], 0, v1, s[0:1]
	v_cmp_eq_u16_e64 s[0:1], 1, v2
	v_add_u32_e32 v2, s21, v0
	v_add_u32_e32 v1, v2, v1
	v_cmp_ge_i32_e64 s[2:3], v1, v2
	s_and_b64 s[2:3], s[0:1], s[2:3]
	s_mov_b64 s[0:1], -1
	s_and_saveexec_b64 s[16:17], s[2:3]
	s_cbranch_execz .LBB47_50
; %bb.47:
	v_and_b32_e32 v30, -2, v19
	v_mad_u32_u24 v1, v18, 1, v0
	s_mov_b32 s22, s21
	s_waitcnt lgkmcnt(0)
	v_mov_b32_e32 v21, v20
	s_mov_b64 s[18:19], 0
	v_mov_b32_e32 v31, s13
	v_mov_b32_e32 v32, s11
	s_mov_b32 s23, 0x7f800000
	s_movk_i32 s24, 0x7fff
	v_mov_b32_e32 v33, s9
	s_mov_b32 s25, 0x7060302
	v_mov_b32_e32 v23, 0
	v_mov_b32_e32 v34, v30
	v_pk_mov_b32 v[24:25], v[0:1], v[0:1] op_sel:[0,1]
.LBB47_48:                              ; =>This Inner Loop Header: Depth=1
	v_add_u32_e32 v2, s21, v24
	v_ashrrev_i32_e32 v3, 31, v2
	v_add_u32_e32 v4, s22, v25
	v_lshlrev_b64 v[2:3], 4, v[2:3]
	v_ashrrev_i32_e32 v5, 31, v4
	v_add_co_u32_e64 v10, s[0:1], s12, v2
	v_addc_co_u32_e64 v11, s[0:1], v31, v3, s[0:1]
	v_lshlrev_b64 v[2:3], 4, v[4:5]
	v_add_co_u32_e64 v12, s[0:1], s12, v2
	v_addc_co_u32_e64 v13, s[0:1], v31, v3, s[0:1]
	global_load_dwordx4 v[2:5], v[10:11], off
	global_load_dwordx4 v[6:9], v[12:13], off
	v_mov_b32_e32 v22, v24
	v_lshlrev_b64 v[26:27], 4, v[22:23]
	v_add_co_u32_e64 v36, s[0:1], s10, v26
	v_mov_b32_e32 v22, v25
	v_addc_co_u32_e64 v37, s[0:1], v32, v27, s[0:1]
	v_lshlrev_b64 v[28:29], 4, v[22:23]
	v_add_co_u32_e64 v38, s[0:1], s10, v28
	v_addc_co_u32_e64 v39, s[0:1], v32, v29, s[0:1]
	global_load_dwordx4 v[10:13], v[36:37], off
	global_load_dwordx4 v[14:17], v[38:39], off
	v_add_u32_e32 v34, -2, v34
	v_add_u32_e32 v25, 2, v25
	v_add_u32_e32 v24, 2, v24
	s_waitcnt vmcnt(3)
	v_lshlrev_b32_e32 v36, 16, v2
	s_waitcnt vmcnt(2)
	v_lshlrev_b32_e32 v37, 16, v6
	v_pk_mul_f32 v[36:37], v[20:21], v[36:37]
	v_and_b32_e32 v1, 0x7f800000, v36
	v_and_b32_e32 v22, 0x7f800000, v37
	v_cmp_eq_u32_e64 s[0:1], s23, v22
	v_cmp_eq_u32_e64 s[2:3], s23, v1
	v_bfe_u32 v1, v36, 16, 1
	v_bfe_u32 v22, v37, 16, 1
	v_cmp_eq_u32_sdwa s[4:5], v36, v23 src0_sel:WORD_0 src1_sel:DWORD
	v_cmp_eq_u32_sdwa s[6:7], v37, v23 src0_sel:WORD_0 src1_sel:DWORD
	v_or_b32_e32 v35, 0x10000, v36
	v_or_b32_e32 v38, 0x10000, v37
	v_add3_u32 v22, v37, v22, s24
	v_add3_u32 v1, v36, v1, s24
	v_cndmask_b32_e64 v37, v38, v37, s[6:7]
	v_cndmask_b32_e64 v35, v35, v36, s[4:5]
	v_cndmask_b32_e64 v1, v1, v35, s[2:3]
	v_cndmask_b32_e64 v22, v22, v37, s[0:1]
	v_and_b32_e32 v37, 0xffff0000, v22
	v_and_b32_e32 v36, 0xffff0000, v1
	s_waitcnt vmcnt(0)
	v_lshlrev_b32_e32 v39, 16, v14
	v_lshlrev_b32_e32 v38, 16, v10
	v_pk_mul_f32 v[36:37], v[36:37], v[38:39]
	v_and_b32_e32 v22, 0x7f800000, v36
	v_and_b32_e32 v1, 0x7f800000, v37
	v_cmp_eq_u32_e64 s[0:1], s23, v22
	v_bfe_u32 v22, v36, 16, 1
	v_cmp_eq_u32_sdwa s[6:7], v36, v23 src0_sel:WORD_0 src1_sel:DWORD
	v_or_b32_e32 v38, 0x10000, v36
	v_cmp_eq_u32_e64 s[2:3], s23, v1
	v_bfe_u32 v1, v37, 16, 1
	v_add3_u32 v22, v36, v22, s24
	v_cmp_eq_u32_sdwa s[4:5], v37, v23 src0_sel:WORD_0 src1_sel:DWORD
	v_or_b32_e32 v35, 0x10000, v37
	v_cndmask_b32_e64 v36, v38, v36, s[6:7]
	v_add3_u32 v1, v37, v1, s24
	v_cndmask_b32_e64 v35, v35, v37, s[4:5]
	v_cndmask_b32_e64 v22, v22, v36, s[0:1]
	v_and_b32_e32 v37, 0xffff0000, v6
	v_and_b32_e32 v36, 0xffff0000, v2
	v_pk_mul_f32 v[36:37], v[20:21], v[36:37]
	v_and_b32_e32 v2, 0x7f800000, v36
	v_and_b32_e32 v6, 0x7f800000, v37
	v_cndmask_b32_e64 v1, v1, v35, s[2:3]
	v_cmp_eq_u32_e64 s[0:1], s23, v6
	v_cmp_eq_u32_e64 s[2:3], s23, v2
	v_bfe_u32 v2, v36, 16, 1
	v_bfe_u32 v6, v37, 16, 1
	v_cmp_eq_u32_sdwa s[4:5], v36, v23 src0_sel:WORD_0 src1_sel:DWORD
	v_cmp_eq_u32_sdwa s[6:7], v37, v23 src0_sel:WORD_0 src1_sel:DWORD
	v_or_b32_e32 v35, 0x10000, v36
	v_or_b32_e32 v38, 0x10000, v37
	v_add3_u32 v6, v37, v6, s24
	v_add3_u32 v2, v36, v2, s24
	v_cndmask_b32_e64 v37, v38, v37, s[6:7]
	v_cndmask_b32_e64 v35, v35, v36, s[4:5]
	;; [unrolled: 1-line block ×4, first 2 shown]
	v_and_b32_e32 v37, 0xffff0000, v6
	v_and_b32_e32 v36, 0xffff0000, v2
	;; [unrolled: 1-line block ×4, first 2 shown]
	v_pk_mul_f32 v[36:37], v[36:37], v[38:39]
	v_and_b32_e32 v2, 0x7f800000, v37
	v_and_b32_e32 v6, 0x7f800000, v36
	v_cmp_eq_u32_e64 s[0:1], s23, v6
	v_cmp_eq_u32_e64 s[2:3], s23, v2
	v_bfe_u32 v2, v37, 16, 1
	v_bfe_u32 v6, v36, 16, 1
	v_cmp_eq_u32_sdwa s[4:5], v37, v23 src0_sel:WORD_0 src1_sel:DWORD
	v_cmp_eq_u32_sdwa s[6:7], v36, v23 src0_sel:WORD_0 src1_sel:DWORD
	v_or_b32_e32 v10, 0x10000, v37
	v_or_b32_e32 v14, 0x10000, v36
	v_add3_u32 v6, v36, v6, s24
	v_add3_u32 v2, v37, v2, s24
	v_cndmask_b32_e64 v14, v14, v36, s[6:7]
	v_cndmask_b32_e64 v10, v10, v37, s[4:5]
	v_lshlrev_b32_e32 v37, 16, v7
	v_lshlrev_b32_e32 v36, 16, v3
	v_pk_mul_f32 v[36:37], v[20:21], v[36:37]
	v_cndmask_b32_e64 v2, v2, v10, s[2:3]
	v_cndmask_b32_e64 v6, v6, v14, s[0:1]
	v_and_b32_e32 v10, 0x7f800000, v36
	v_and_b32_e32 v14, 0x7f800000, v37
	v_cmp_eq_u32_e64 s[0:1], s23, v14
	v_cmp_eq_u32_e64 s[2:3], s23, v10
	v_bfe_u32 v10, v36, 16, 1
	v_bfe_u32 v14, v37, 16, 1
	v_cmp_eq_u32_sdwa s[4:5], v36, v23 src0_sel:WORD_0 src1_sel:DWORD
	v_cmp_eq_u32_sdwa s[6:7], v37, v23 src0_sel:WORD_0 src1_sel:DWORD
	v_or_b32_e32 v35, 0x10000, v36
	v_or_b32_e32 v38, 0x10000, v37
	v_add3_u32 v14, v37, v14, s24
	v_add3_u32 v10, v36, v10, s24
	v_cndmask_b32_e64 v37, v38, v37, s[6:7]
	v_cndmask_b32_e64 v35, v35, v36, s[4:5]
	;; [unrolled: 1-line block ×4, first 2 shown]
	v_and_b32_e32 v37, 0xffff0000, v14
	v_and_b32_e32 v36, 0xffff0000, v10
	v_lshlrev_b32_e32 v39, 16, v15
	v_lshlrev_b32_e32 v38, 16, v11
	v_pk_mul_f32 v[36:37], v[36:37], v[38:39]
	v_and_b32_e32 v14, 0x7f800000, v36
	v_and_b32_e32 v10, 0x7f800000, v37
	v_cmp_eq_u32_e64 s[0:1], s23, v14
	v_bfe_u32 v14, v36, 16, 1
	v_cmp_eq_u32_sdwa s[6:7], v36, v23 src0_sel:WORD_0 src1_sel:DWORD
	v_or_b32_e32 v38, 0x10000, v36
	v_cmp_eq_u32_e64 s[2:3], s23, v10
	v_bfe_u32 v10, v37, 16, 1
	v_add3_u32 v14, v36, v14, s24
	v_cmp_eq_u32_sdwa s[4:5], v37, v23 src0_sel:WORD_0 src1_sel:DWORD
	v_or_b32_e32 v35, 0x10000, v37
	v_cndmask_b32_e64 v36, v38, v36, s[6:7]
	v_add3_u32 v10, v37, v10, s24
	v_cndmask_b32_e64 v35, v35, v37, s[4:5]
	v_cndmask_b32_e64 v14, v14, v36, s[0:1]
	v_and_b32_e32 v37, 0xffff0000, v7
	v_and_b32_e32 v36, 0xffff0000, v3
	v_pk_mul_f32 v[36:37], v[20:21], v[36:37]
	v_and_b32_e32 v3, 0x7f800000, v36
	v_and_b32_e32 v7, 0x7f800000, v37
	v_cndmask_b32_e64 v10, v10, v35, s[2:3]
	v_cmp_eq_u32_e64 s[0:1], s23, v7
	v_cmp_eq_u32_e64 s[2:3], s23, v3
	v_bfe_u32 v3, v36, 16, 1
	v_bfe_u32 v7, v37, 16, 1
	v_cmp_eq_u32_sdwa s[4:5], v36, v23 src0_sel:WORD_0 src1_sel:DWORD
	v_cmp_eq_u32_sdwa s[6:7], v37, v23 src0_sel:WORD_0 src1_sel:DWORD
	v_or_b32_e32 v35, 0x10000, v36
	v_or_b32_e32 v38, 0x10000, v37
	v_add3_u32 v7, v37, v7, s24
	v_add3_u32 v3, v36, v3, s24
	v_cndmask_b32_e64 v37, v38, v37, s[6:7]
	v_cndmask_b32_e64 v35, v35, v36, s[4:5]
	;; [unrolled: 1-line block ×4, first 2 shown]
	v_and_b32_e32 v37, 0xffff0000, v7
	v_and_b32_e32 v36, 0xffff0000, v3
	v_and_b32_e32 v39, 0xffff0000, v15
	v_and_b32_e32 v38, 0xffff0000, v11
	v_pk_mul_f32 v[36:37], v[36:37], v[38:39]
	v_and_b32_e32 v3, 0x7f800000, v37
	v_and_b32_e32 v7, 0x7f800000, v36
	v_cmp_eq_u32_e64 s[0:1], s23, v7
	v_cmp_eq_u32_e64 s[2:3], s23, v3
	v_bfe_u32 v3, v37, 16, 1
	v_bfe_u32 v7, v36, 16, 1
	v_cmp_eq_u32_sdwa s[4:5], v37, v23 src0_sel:WORD_0 src1_sel:DWORD
	v_cmp_eq_u32_sdwa s[6:7], v36, v23 src0_sel:WORD_0 src1_sel:DWORD
	v_or_b32_e32 v11, 0x10000, v37
	v_or_b32_e32 v15, 0x10000, v36
	v_add3_u32 v7, v36, v7, s24
	v_add3_u32 v3, v37, v3, s24
	v_cndmask_b32_e64 v15, v15, v36, s[6:7]
	v_cndmask_b32_e64 v11, v11, v37, s[4:5]
	v_lshlrev_b32_e32 v37, 16, v8
	v_lshlrev_b32_e32 v36, 16, v4
	v_pk_mul_f32 v[36:37], v[20:21], v[36:37]
	v_cndmask_b32_e64 v3, v3, v11, s[2:3]
	v_cndmask_b32_e64 v7, v7, v15, s[0:1]
	v_and_b32_e32 v11, 0x7f800000, v36
	v_and_b32_e32 v15, 0x7f800000, v37
	v_cmp_eq_u32_e64 s[0:1], s23, v15
	v_cmp_eq_u32_e64 s[2:3], s23, v11
	v_bfe_u32 v11, v36, 16, 1
	v_bfe_u32 v15, v37, 16, 1
	v_cmp_eq_u32_sdwa s[4:5], v36, v23 src0_sel:WORD_0 src1_sel:DWORD
	v_cmp_eq_u32_sdwa s[6:7], v37, v23 src0_sel:WORD_0 src1_sel:DWORD
	v_or_b32_e32 v35, 0x10000, v36
	v_or_b32_e32 v38, 0x10000, v37
	v_add3_u32 v15, v37, v15, s24
	v_add3_u32 v11, v36, v11, s24
	v_cndmask_b32_e64 v37, v38, v37, s[6:7]
	v_cndmask_b32_e64 v35, v35, v36, s[4:5]
	;; [unrolled: 1-line block ×4, first 2 shown]
	v_and_b32_e32 v37, 0xffff0000, v15
	v_and_b32_e32 v36, 0xffff0000, v11
	v_lshlrev_b32_e32 v39, 16, v16
	v_lshlrev_b32_e32 v38, 16, v12
	v_pk_mul_f32 v[36:37], v[36:37], v[38:39]
	v_and_b32_e32 v15, 0x7f800000, v36
	v_and_b32_e32 v11, 0x7f800000, v37
	v_cmp_eq_u32_e64 s[0:1], s23, v15
	v_bfe_u32 v15, v36, 16, 1
	v_cmp_eq_u32_sdwa s[6:7], v36, v23 src0_sel:WORD_0 src1_sel:DWORD
	v_or_b32_e32 v38, 0x10000, v36
	v_cmp_eq_u32_e64 s[2:3], s23, v11
	v_bfe_u32 v11, v37, 16, 1
	v_add3_u32 v15, v36, v15, s24
	v_cmp_eq_u32_sdwa s[4:5], v37, v23 src0_sel:WORD_0 src1_sel:DWORD
	v_or_b32_e32 v35, 0x10000, v37
	v_cndmask_b32_e64 v36, v38, v36, s[6:7]
	v_add3_u32 v11, v37, v11, s24
	v_cndmask_b32_e64 v35, v35, v37, s[4:5]
	v_cndmask_b32_e64 v15, v15, v36, s[0:1]
	v_and_b32_e32 v37, 0xffff0000, v8
	v_and_b32_e32 v36, 0xffff0000, v4
	v_pk_mul_f32 v[36:37], v[20:21], v[36:37]
	v_and_b32_e32 v4, 0x7f800000, v36
	v_and_b32_e32 v8, 0x7f800000, v37
	v_cndmask_b32_e64 v11, v11, v35, s[2:3]
	v_cmp_eq_u32_e64 s[0:1], s23, v8
	v_cmp_eq_u32_e64 s[2:3], s23, v4
	v_bfe_u32 v4, v36, 16, 1
	v_bfe_u32 v8, v37, 16, 1
	v_cmp_eq_u32_sdwa s[4:5], v36, v23 src0_sel:WORD_0 src1_sel:DWORD
	v_cmp_eq_u32_sdwa s[6:7], v37, v23 src0_sel:WORD_0 src1_sel:DWORD
	v_or_b32_e32 v35, 0x10000, v36
	v_or_b32_e32 v38, 0x10000, v37
	v_add3_u32 v8, v37, v8, s24
	v_add3_u32 v4, v36, v4, s24
	v_cndmask_b32_e64 v37, v38, v37, s[6:7]
	v_cndmask_b32_e64 v35, v35, v36, s[4:5]
	;; [unrolled: 1-line block ×4, first 2 shown]
	v_and_b32_e32 v37, 0xffff0000, v8
	v_and_b32_e32 v36, 0xffff0000, v4
	;; [unrolled: 1-line block ×4, first 2 shown]
	v_pk_mul_f32 v[36:37], v[36:37], v[38:39]
	v_and_b32_e32 v4, 0x7f800000, v37
	v_and_b32_e32 v8, 0x7f800000, v36
	v_cmp_eq_u32_e64 s[0:1], s23, v8
	v_cmp_eq_u32_e64 s[2:3], s23, v4
	v_bfe_u32 v4, v37, 16, 1
	v_bfe_u32 v8, v36, 16, 1
	v_cmp_eq_u32_sdwa s[4:5], v37, v23 src0_sel:WORD_0 src1_sel:DWORD
	v_cmp_eq_u32_sdwa s[6:7], v36, v23 src0_sel:WORD_0 src1_sel:DWORD
	v_or_b32_e32 v12, 0x10000, v37
	v_or_b32_e32 v16, 0x10000, v36
	v_add3_u32 v8, v36, v8, s24
	v_add3_u32 v4, v37, v4, s24
	v_cndmask_b32_e64 v16, v16, v36, s[6:7]
	v_cndmask_b32_e64 v12, v12, v37, s[4:5]
	v_lshlrev_b32_e32 v37, 16, v9
	v_lshlrev_b32_e32 v36, 16, v5
	v_pk_mul_f32 v[36:37], v[20:21], v[36:37]
	v_cndmask_b32_e64 v4, v4, v12, s[2:3]
	v_cndmask_b32_e64 v8, v8, v16, s[0:1]
	v_and_b32_e32 v12, 0x7f800000, v36
	v_and_b32_e32 v16, 0x7f800000, v37
	v_cmp_eq_u32_e64 s[0:1], s23, v16
	v_cmp_eq_u32_e64 s[2:3], s23, v12
	v_bfe_u32 v12, v36, 16, 1
	v_bfe_u32 v16, v37, 16, 1
	v_cmp_eq_u32_sdwa s[4:5], v36, v23 src0_sel:WORD_0 src1_sel:DWORD
	v_cmp_eq_u32_sdwa s[6:7], v37, v23 src0_sel:WORD_0 src1_sel:DWORD
	v_or_b32_e32 v35, 0x10000, v36
	v_or_b32_e32 v38, 0x10000, v37
	v_add3_u32 v16, v37, v16, s24
	v_add3_u32 v12, v36, v12, s24
	v_cndmask_b32_e64 v37, v38, v37, s[6:7]
	v_cndmask_b32_e64 v35, v35, v36, s[4:5]
	;; [unrolled: 1-line block ×4, first 2 shown]
	v_and_b32_e32 v37, 0xffff0000, v16
	v_and_b32_e32 v36, 0xffff0000, v12
	v_lshlrev_b32_e32 v39, 16, v17
	v_lshlrev_b32_e32 v38, 16, v13
	v_pk_mul_f32 v[36:37], v[36:37], v[38:39]
	v_and_b32_e32 v16, 0x7f800000, v36
	v_and_b32_e32 v12, 0x7f800000, v37
	v_cmp_eq_u32_e64 s[0:1], s23, v16
	v_bfe_u32 v16, v36, 16, 1
	v_cmp_eq_u32_sdwa s[6:7], v36, v23 src0_sel:WORD_0 src1_sel:DWORD
	v_or_b32_e32 v38, 0x10000, v36
	v_cmp_eq_u32_e64 s[2:3], s23, v12
	v_bfe_u32 v12, v37, 16, 1
	v_add3_u32 v16, v36, v16, s24
	v_cmp_eq_u32_sdwa s[4:5], v37, v23 src0_sel:WORD_0 src1_sel:DWORD
	v_or_b32_e32 v35, 0x10000, v37
	v_cndmask_b32_e64 v36, v38, v36, s[6:7]
	v_add3_u32 v12, v37, v12, s24
	v_cndmask_b32_e64 v35, v35, v37, s[4:5]
	v_cndmask_b32_e64 v16, v16, v36, s[0:1]
	v_and_b32_e32 v37, 0xffff0000, v9
	v_and_b32_e32 v36, 0xffff0000, v5
	v_pk_mul_f32 v[36:37], v[20:21], v[36:37]
	v_and_b32_e32 v5, 0x7f800000, v36
	v_and_b32_e32 v9, 0x7f800000, v37
	v_cndmask_b32_e64 v12, v12, v35, s[2:3]
	v_cmp_eq_u32_e64 s[0:1], s23, v9
	v_cmp_eq_u32_e64 s[2:3], s23, v5
	v_bfe_u32 v5, v36, 16, 1
	v_bfe_u32 v9, v37, 16, 1
	v_cmp_eq_u32_sdwa s[4:5], v36, v23 src0_sel:WORD_0 src1_sel:DWORD
	v_cmp_eq_u32_sdwa s[6:7], v37, v23 src0_sel:WORD_0 src1_sel:DWORD
	v_or_b32_e32 v35, 0x10000, v36
	v_or_b32_e32 v38, 0x10000, v37
	v_add3_u32 v9, v37, v9, s24
	v_add3_u32 v5, v36, v5, s24
	v_cndmask_b32_e64 v37, v38, v37, s[6:7]
	v_cndmask_b32_e64 v35, v35, v36, s[4:5]
	;; [unrolled: 1-line block ×4, first 2 shown]
	v_and_b32_e32 v37, 0xffff0000, v9
	v_and_b32_e32 v36, 0xffff0000, v5
	;; [unrolled: 1-line block ×4, first 2 shown]
	v_pk_mul_f32 v[36:37], v[36:37], v[38:39]
	v_and_b32_e32 v9, 0x7f800000, v36
	v_cmp_eq_u32_e64 s[0:1], s23, v9
	v_bfe_u32 v9, v36, 16, 1
	v_cmp_eq_u32_sdwa s[6:7], v36, v23 src0_sel:WORD_0 src1_sel:DWORD
	v_or_b32_e32 v17, 0x10000, v36
	v_add3_u32 v9, v36, v9, s24
	v_cndmask_b32_e64 v17, v17, v36, s[6:7]
	v_cndmask_b32_e64 v9, v9, v17, s[0:1]
	v_add_co_u32_e64 v26, s[0:1], s8, v26
	v_and_b32_e32 v5, 0x7f800000, v37
	v_addc_co_u32_e64 v27, s[0:1], v33, v27, s[0:1]
	v_cmp_eq_u32_e64 s[2:3], s23, v5
	v_bfe_u32 v5, v37, 16, 1
	v_cmp_eq_u32_sdwa s[4:5], v37, v23 src0_sel:WORD_0 src1_sel:DWORD
	v_or_b32_e32 v13, 0x10000, v37
	v_add_co_u32_e64 v28, s[0:1], s8, v28
	v_add3_u32 v5, v37, v5, s24
	v_cndmask_b32_e64 v13, v13, v37, s[4:5]
	v_addc_co_u32_e64 v29, s[0:1], v33, v29, s[0:1]
	v_cndmask_b32_e64 v5, v5, v13, s[2:3]
	v_cmp_eq_u32_e64 s[0:1], 0, v34
	v_perm_b32 v7, v7, v14, s25
	v_perm_b32 v6, v6, v22, s25
	;; [unrolled: 1-line block ×8, first 2 shown]
	s_or_b64 s[18:19], s[0:1], s[18:19]
	global_store_dwordx4 v[26:27], v[6:9], off
	global_store_dwordx4 v[28:29], v[2:5], off
	s_andn2_b64 exec, exec, s[18:19]
	s_cbranch_execnz .LBB47_48
; %bb.49:
	s_or_b64 exec, exec, s[18:19]
	v_mad_u64_u32 v[0:1], s[0:1], v30, v18, v[0:1]
	v_cmp_ne_u32_e64 s[0:1], v19, v30
	s_orn2_b64 s[0:1], s[0:1], exec
.LBB47_50:
	s_or_b64 exec, exec, s[16:17]
	s_andn2_b64 s[2:3], vcc, exec
	s_and_b64 s[0:1], s[0:1], exec
	s_or_b64 vcc, s[2:3], s[0:1]
.LBB47_51:
	s_or_b64 exec, exec, s[14:15]
	s_and_b64 exec, exec, vcc
	s_cbranch_execz .LBB47_118
; %bb.52:
	v_mov_b32_e32 v1, 0
	v_mov_b32_e32 v19, v1
	v_lshlrev_b64 v[10:11], 4, v[0:1]
	v_lshlrev_b64 v[12:13], 4, v[18:19]
	s_mov_b64 s[0:1], 0
	v_pk_mov_b32 v[14:15], s[8:9], s[8:9] op_sel:[0,1]
	v_pk_mov_b32 v[16:17], s[10:11], s[10:11] op_sel:[0,1]
	v_mov_b32_e32 v19, s13
	s_mov_b32 s4, 0x7f800000
	s_movk_i32 s5, 0x7fff
	s_mov_b32 s6, 0x7060302
	s_branch .LBB47_54
.LBB47_53:                              ;   in Loop: Header=BB47_54 Depth=1
	s_or_b64 exec, exec, s[2:3]
	v_add_co_u32_e32 v22, vcc, v14, v10
	v_addc_co_u32_e32 v23, vcc, v15, v11, vcc
	v_add_co_u32_e32 v16, vcc, v16, v12
	v_add_u32_e32 v0, v0, v18
	v_addc_co_u32_e32 v17, vcc, v17, v13, vcc
	v_cmp_le_i32_e32 vcc, s20, v0
	s_or_b64 s[0:1], vcc, s[0:1]
	v_add_co_u32_e32 v14, vcc, v14, v12
	v_perm_b32 v5, v5, v8, s6
	v_perm_b32 v4, v4, v7, s6
	;; [unrolled: 1-line block ×4, first 2 shown]
	v_addc_co_u32_e32 v15, vcc, v15, v13, vcc
	global_store_dwordx4 v[22:23], v[2:5], off
	s_andn2_b64 exec, exec, s[0:1]
	s_cbranch_execz .LBB47_118
.LBB47_54:                              ; =>This Inner Loop Header: Depth=1
	v_add_u32_e32 v2, s21, v0
	v_ashrrev_i32_e32 v3, 31, v2
	v_lshlrev_b64 v[2:3], 4, v[2:3]
	v_add_co_u32_e32 v2, vcc, s12, v2
	v_addc_co_u32_e32 v3, vcc, v19, v3, vcc
	global_load_dwordx4 v[6:9], v[2:3], off
	v_add_co_u32_e32 v2, vcc, v16, v10
	v_addc_co_u32_e32 v3, vcc, v17, v11, vcc
	global_load_dwordx4 v[2:5], v[2:3], off
	s_waitcnt vmcnt(1)
	v_lshlrev_b32_e32 v21, 16, v6
	s_waitcnt lgkmcnt(0)
	v_mul_f32_e32 v21, v20, v21
	v_and_b32_e32 v22, 0x7f800000, v21
	v_cmp_ne_u32_e32 vcc, s4, v22
                                        ; implicit-def: $vgpr22
	s_and_saveexec_b64 s[2:3], vcc
	s_xor_b64 s[2:3], exec, s[2:3]
; %bb.55:                               ;   in Loop: Header=BB47_54 Depth=1
	v_bfe_u32 v22, v21, 16, 1
	v_add3_u32 v22, v21, v22, s5
                                        ; implicit-def: $vgpr21
; %bb.56:                               ;   in Loop: Header=BB47_54 Depth=1
	s_andn2_saveexec_b64 s[2:3], s[2:3]
; %bb.57:                               ;   in Loop: Header=BB47_54 Depth=1
	v_or_b32_e32 v22, 0x10000, v21
	v_cmp_eq_u32_sdwa vcc, v21, v1 src0_sel:WORD_0 src1_sel:DWORD
	v_cndmask_b32_e32 v22, v22, v21, vcc
; %bb.58:                               ;   in Loop: Header=BB47_54 Depth=1
	s_or_b64 exec, exec, s[2:3]
	v_and_b32_e32 v21, 0xffff0000, v22
	s_waitcnt vmcnt(0)
	v_lshlrev_b32_e32 v22, 16, v2
	v_mul_f32_e32 v22, v21, v22
	v_and_b32_e32 v21, 0x7f800000, v22
	v_cmp_ne_u32_e32 vcc, s4, v21
                                        ; implicit-def: $vgpr21
	s_and_saveexec_b64 s[2:3], vcc
	s_xor_b64 s[2:3], exec, s[2:3]
; %bb.59:                               ;   in Loop: Header=BB47_54 Depth=1
	v_bfe_u32 v21, v22, 16, 1
	v_add3_u32 v21, v22, v21, s5
                                        ; implicit-def: $vgpr22
; %bb.60:                               ;   in Loop: Header=BB47_54 Depth=1
	s_andn2_saveexec_b64 s[2:3], s[2:3]
; %bb.61:                               ;   in Loop: Header=BB47_54 Depth=1
	v_or_b32_e32 v21, 0x10000, v22
	v_cmp_eq_u32_sdwa vcc, v22, v1 src0_sel:WORD_0 src1_sel:DWORD
	v_cndmask_b32_e32 v21, v21, v22, vcc
; %bb.62:                               ;   in Loop: Header=BB47_54 Depth=1
	s_or_b64 exec, exec, s[2:3]
	v_and_b32_e32 v6, 0xffff0000, v6
	v_mul_f32_e32 v6, v20, v6
	v_and_b32_e32 v22, 0x7f800000, v6
	v_cmp_ne_u32_e32 vcc, s4, v22
                                        ; implicit-def: $vgpr22
	s_and_saveexec_b64 s[2:3], vcc
	s_xor_b64 s[2:3], exec, s[2:3]
; %bb.63:                               ;   in Loop: Header=BB47_54 Depth=1
	v_bfe_u32 v22, v6, 16, 1
	v_add3_u32 v22, v6, v22, s5
                                        ; implicit-def: $vgpr6
; %bb.64:                               ;   in Loop: Header=BB47_54 Depth=1
	s_andn2_saveexec_b64 s[2:3], s[2:3]
; %bb.65:                               ;   in Loop: Header=BB47_54 Depth=1
	v_or_b32_e32 v22, 0x10000, v6
	v_cmp_eq_u32_sdwa vcc, v6, v1 src0_sel:WORD_0 src1_sel:DWORD
	v_cndmask_b32_e32 v22, v22, v6, vcc
; %bb.66:                               ;   in Loop: Header=BB47_54 Depth=1
	s_or_b64 exec, exec, s[2:3]
	v_and_b32_e32 v6, 0xffff0000, v22
	v_and_b32_e32 v2, 0xffff0000, v2
	v_mul_f32_e32 v6, v6, v2
	v_and_b32_e32 v2, 0x7f800000, v6
	v_cmp_ne_u32_e32 vcc, s4, v2
                                        ; implicit-def: $vgpr2
	s_and_saveexec_b64 s[2:3], vcc
	s_xor_b64 s[2:3], exec, s[2:3]
; %bb.67:                               ;   in Loop: Header=BB47_54 Depth=1
	v_bfe_u32 v2, v6, 16, 1
	v_add3_u32 v2, v6, v2, s5
                                        ; implicit-def: $vgpr6
; %bb.68:                               ;   in Loop: Header=BB47_54 Depth=1
	s_andn2_saveexec_b64 s[2:3], s[2:3]
; %bb.69:                               ;   in Loop: Header=BB47_54 Depth=1
	v_or_b32_e32 v2, 0x10000, v6
	v_cmp_eq_u32_sdwa vcc, v6, v1 src0_sel:WORD_0 src1_sel:DWORD
	v_cndmask_b32_e32 v2, v2, v6, vcc
; %bb.70:                               ;   in Loop: Header=BB47_54 Depth=1
	s_or_b64 exec, exec, s[2:3]
	v_lshlrev_b32_e32 v6, 16, v7
	v_mul_f32_e32 v6, v20, v6
	v_and_b32_e32 v22, 0x7f800000, v6
	v_cmp_ne_u32_e32 vcc, s4, v22
                                        ; implicit-def: $vgpr22
	s_and_saveexec_b64 s[2:3], vcc
	s_xor_b64 s[2:3], exec, s[2:3]
; %bb.71:                               ;   in Loop: Header=BB47_54 Depth=1
	v_bfe_u32 v22, v6, 16, 1
	v_add3_u32 v22, v6, v22, s5
                                        ; implicit-def: $vgpr6
; %bb.72:                               ;   in Loop: Header=BB47_54 Depth=1
	s_andn2_saveexec_b64 s[2:3], s[2:3]
; %bb.73:                               ;   in Loop: Header=BB47_54 Depth=1
	v_or_b32_e32 v22, 0x10000, v6
	v_cmp_eq_u32_sdwa vcc, v6, v1 src0_sel:WORD_0 src1_sel:DWORD
	v_cndmask_b32_e32 v22, v22, v6, vcc
; %bb.74:                               ;   in Loop: Header=BB47_54 Depth=1
	s_or_b64 exec, exec, s[2:3]
	v_and_b32_e32 v6, 0xffff0000, v22
	v_lshlrev_b32_e32 v22, 16, v3
	v_mul_f32_e32 v22, v6, v22
	v_and_b32_e32 v6, 0x7f800000, v22
	v_cmp_ne_u32_e32 vcc, s4, v6
                                        ; implicit-def: $vgpr6
	s_and_saveexec_b64 s[2:3], vcc
	s_xor_b64 s[2:3], exec, s[2:3]
; %bb.75:                               ;   in Loop: Header=BB47_54 Depth=1
	v_bfe_u32 v6, v22, 16, 1
	v_add3_u32 v6, v22, v6, s5
                                        ; implicit-def: $vgpr22
; %bb.76:                               ;   in Loop: Header=BB47_54 Depth=1
	s_andn2_saveexec_b64 s[2:3], s[2:3]
; %bb.77:                               ;   in Loop: Header=BB47_54 Depth=1
	v_or_b32_e32 v6, 0x10000, v22
	v_cmp_eq_u32_sdwa vcc, v22, v1 src0_sel:WORD_0 src1_sel:DWORD
	v_cndmask_b32_e32 v6, v6, v22, vcc
; %bb.78:                               ;   in Loop: Header=BB47_54 Depth=1
	s_or_b64 exec, exec, s[2:3]
	v_and_b32_e32 v7, 0xffff0000, v7
	v_mul_f32_e32 v7, v20, v7
	v_and_b32_e32 v22, 0x7f800000, v7
	v_cmp_ne_u32_e32 vcc, s4, v22
                                        ; implicit-def: $vgpr22
	s_and_saveexec_b64 s[2:3], vcc
	s_xor_b64 s[2:3], exec, s[2:3]
; %bb.79:                               ;   in Loop: Header=BB47_54 Depth=1
	v_bfe_u32 v22, v7, 16, 1
	v_add3_u32 v22, v7, v22, s5
                                        ; implicit-def: $vgpr7
; %bb.80:                               ;   in Loop: Header=BB47_54 Depth=1
	s_andn2_saveexec_b64 s[2:3], s[2:3]
; %bb.81:                               ;   in Loop: Header=BB47_54 Depth=1
	v_or_b32_e32 v22, 0x10000, v7
	v_cmp_eq_u32_sdwa vcc, v7, v1 src0_sel:WORD_0 src1_sel:DWORD
	v_cndmask_b32_e32 v22, v22, v7, vcc
; %bb.82:                               ;   in Loop: Header=BB47_54 Depth=1
	s_or_b64 exec, exec, s[2:3]
	v_and_b32_e32 v7, 0xffff0000, v22
	v_and_b32_e32 v3, 0xffff0000, v3
	v_mul_f32_e32 v7, v7, v3
	v_and_b32_e32 v3, 0x7f800000, v7
	v_cmp_ne_u32_e32 vcc, s4, v3
                                        ; implicit-def: $vgpr3
	s_and_saveexec_b64 s[2:3], vcc
	s_xor_b64 s[2:3], exec, s[2:3]
; %bb.83:                               ;   in Loop: Header=BB47_54 Depth=1
	v_bfe_u32 v3, v7, 16, 1
	v_add3_u32 v3, v7, v3, s5
                                        ; implicit-def: $vgpr7
; %bb.84:                               ;   in Loop: Header=BB47_54 Depth=1
	s_andn2_saveexec_b64 s[2:3], s[2:3]
; %bb.85:                               ;   in Loop: Header=BB47_54 Depth=1
	v_or_b32_e32 v3, 0x10000, v7
	v_cmp_eq_u32_sdwa vcc, v7, v1 src0_sel:WORD_0 src1_sel:DWORD
	v_cndmask_b32_e32 v3, v3, v7, vcc
; %bb.86:                               ;   in Loop: Header=BB47_54 Depth=1
	s_or_b64 exec, exec, s[2:3]
	v_lshlrev_b32_e32 v7, 16, v8
	v_mul_f32_e32 v7, v20, v7
	v_and_b32_e32 v22, 0x7f800000, v7
	v_cmp_ne_u32_e32 vcc, s4, v22
                                        ; implicit-def: $vgpr22
	s_and_saveexec_b64 s[2:3], vcc
	s_xor_b64 s[2:3], exec, s[2:3]
; %bb.87:                               ;   in Loop: Header=BB47_54 Depth=1
	v_bfe_u32 v22, v7, 16, 1
	v_add3_u32 v22, v7, v22, s5
                                        ; implicit-def: $vgpr7
; %bb.88:                               ;   in Loop: Header=BB47_54 Depth=1
	s_andn2_saveexec_b64 s[2:3], s[2:3]
; %bb.89:                               ;   in Loop: Header=BB47_54 Depth=1
	v_or_b32_e32 v22, 0x10000, v7
	v_cmp_eq_u32_sdwa vcc, v7, v1 src0_sel:WORD_0 src1_sel:DWORD
	v_cndmask_b32_e32 v22, v22, v7, vcc
; %bb.90:                               ;   in Loop: Header=BB47_54 Depth=1
	s_or_b64 exec, exec, s[2:3]
	v_and_b32_e32 v7, 0xffff0000, v22
	v_lshlrev_b32_e32 v22, 16, v4
	v_mul_f32_e32 v22, v7, v22
	v_and_b32_e32 v7, 0x7f800000, v22
	v_cmp_ne_u32_e32 vcc, s4, v7
                                        ; implicit-def: $vgpr7
	s_and_saveexec_b64 s[2:3], vcc
	s_xor_b64 s[2:3], exec, s[2:3]
; %bb.91:                               ;   in Loop: Header=BB47_54 Depth=1
	v_bfe_u32 v7, v22, 16, 1
	v_add3_u32 v7, v22, v7, s5
                                        ; implicit-def: $vgpr22
; %bb.92:                               ;   in Loop: Header=BB47_54 Depth=1
	s_andn2_saveexec_b64 s[2:3], s[2:3]
; %bb.93:                               ;   in Loop: Header=BB47_54 Depth=1
	v_or_b32_e32 v7, 0x10000, v22
	v_cmp_eq_u32_sdwa vcc, v22, v1 src0_sel:WORD_0 src1_sel:DWORD
	v_cndmask_b32_e32 v7, v7, v22, vcc
; %bb.94:                               ;   in Loop: Header=BB47_54 Depth=1
	s_or_b64 exec, exec, s[2:3]
	v_and_b32_e32 v8, 0xffff0000, v8
	v_mul_f32_e32 v8, v20, v8
	v_and_b32_e32 v22, 0x7f800000, v8
	v_cmp_ne_u32_e32 vcc, s4, v22
                                        ; implicit-def: $vgpr22
	s_and_saveexec_b64 s[2:3], vcc
	s_xor_b64 s[2:3], exec, s[2:3]
; %bb.95:                               ;   in Loop: Header=BB47_54 Depth=1
	v_bfe_u32 v22, v8, 16, 1
	v_add3_u32 v22, v8, v22, s5
                                        ; implicit-def: $vgpr8
; %bb.96:                               ;   in Loop: Header=BB47_54 Depth=1
	s_andn2_saveexec_b64 s[2:3], s[2:3]
; %bb.97:                               ;   in Loop: Header=BB47_54 Depth=1
	v_or_b32_e32 v22, 0x10000, v8
	v_cmp_eq_u32_sdwa vcc, v8, v1 src0_sel:WORD_0 src1_sel:DWORD
	v_cndmask_b32_e32 v22, v22, v8, vcc
; %bb.98:                               ;   in Loop: Header=BB47_54 Depth=1
	s_or_b64 exec, exec, s[2:3]
	v_and_b32_e32 v8, 0xffff0000, v22
	v_and_b32_e32 v4, 0xffff0000, v4
	v_mul_f32_e32 v8, v8, v4
	v_and_b32_e32 v4, 0x7f800000, v8
	v_cmp_ne_u32_e32 vcc, s4, v4
                                        ; implicit-def: $vgpr4
	s_and_saveexec_b64 s[2:3], vcc
	s_xor_b64 s[2:3], exec, s[2:3]
; %bb.99:                               ;   in Loop: Header=BB47_54 Depth=1
	v_bfe_u32 v4, v8, 16, 1
	v_add3_u32 v4, v8, v4, s5
                                        ; implicit-def: $vgpr8
; %bb.100:                              ;   in Loop: Header=BB47_54 Depth=1
	s_andn2_saveexec_b64 s[2:3], s[2:3]
; %bb.101:                              ;   in Loop: Header=BB47_54 Depth=1
	v_or_b32_e32 v4, 0x10000, v8
	v_cmp_eq_u32_sdwa vcc, v8, v1 src0_sel:WORD_0 src1_sel:DWORD
	v_cndmask_b32_e32 v4, v4, v8, vcc
; %bb.102:                              ;   in Loop: Header=BB47_54 Depth=1
	s_or_b64 exec, exec, s[2:3]
	v_lshlrev_b32_e32 v8, 16, v9
	v_mul_f32_e32 v8, v20, v8
	v_and_b32_e32 v22, 0x7f800000, v8
	v_cmp_ne_u32_e32 vcc, s4, v22
                                        ; implicit-def: $vgpr22
	s_and_saveexec_b64 s[2:3], vcc
	s_xor_b64 s[2:3], exec, s[2:3]
; %bb.103:                              ;   in Loop: Header=BB47_54 Depth=1
	v_bfe_u32 v22, v8, 16, 1
	v_add3_u32 v22, v8, v22, s5
                                        ; implicit-def: $vgpr8
; %bb.104:                              ;   in Loop: Header=BB47_54 Depth=1
	s_andn2_saveexec_b64 s[2:3], s[2:3]
; %bb.105:                              ;   in Loop: Header=BB47_54 Depth=1
	v_or_b32_e32 v22, 0x10000, v8
	v_cmp_eq_u32_sdwa vcc, v8, v1 src0_sel:WORD_0 src1_sel:DWORD
	v_cndmask_b32_e32 v22, v22, v8, vcc
; %bb.106:                              ;   in Loop: Header=BB47_54 Depth=1
	s_or_b64 exec, exec, s[2:3]
	v_and_b32_e32 v8, 0xffff0000, v22
	v_lshlrev_b32_e32 v22, 16, v5
	v_mul_f32_e32 v22, v8, v22
	v_and_b32_e32 v8, 0x7f800000, v22
	v_cmp_ne_u32_e32 vcc, s4, v8
                                        ; implicit-def: $vgpr8
	s_and_saveexec_b64 s[2:3], vcc
	s_xor_b64 s[2:3], exec, s[2:3]
; %bb.107:                              ;   in Loop: Header=BB47_54 Depth=1
	v_bfe_u32 v8, v22, 16, 1
	v_add3_u32 v8, v22, v8, s5
                                        ; implicit-def: $vgpr22
; %bb.108:                              ;   in Loop: Header=BB47_54 Depth=1
	s_andn2_saveexec_b64 s[2:3], s[2:3]
; %bb.109:                              ;   in Loop: Header=BB47_54 Depth=1
	v_or_b32_e32 v8, 0x10000, v22
	v_cmp_eq_u32_sdwa vcc, v22, v1 src0_sel:WORD_0 src1_sel:DWORD
	v_cndmask_b32_e32 v8, v8, v22, vcc
; %bb.110:                              ;   in Loop: Header=BB47_54 Depth=1
	s_or_b64 exec, exec, s[2:3]
	v_and_b32_e32 v9, 0xffff0000, v9
	v_mul_f32_e32 v9, v20, v9
	v_and_b32_e32 v22, 0x7f800000, v9
	v_cmp_ne_u32_e32 vcc, s4, v22
                                        ; implicit-def: $vgpr22
	s_and_saveexec_b64 s[2:3], vcc
	s_xor_b64 s[2:3], exec, s[2:3]
; %bb.111:                              ;   in Loop: Header=BB47_54 Depth=1
	v_bfe_u32 v22, v9, 16, 1
	v_add3_u32 v22, v9, v22, s5
                                        ; implicit-def: $vgpr9
; %bb.112:                              ;   in Loop: Header=BB47_54 Depth=1
	s_andn2_saveexec_b64 s[2:3], s[2:3]
; %bb.113:                              ;   in Loop: Header=BB47_54 Depth=1
	v_or_b32_e32 v22, 0x10000, v9
	v_cmp_eq_u32_sdwa vcc, v9, v1 src0_sel:WORD_0 src1_sel:DWORD
	v_cndmask_b32_e32 v22, v22, v9, vcc
; %bb.114:                              ;   in Loop: Header=BB47_54 Depth=1
	s_or_b64 exec, exec, s[2:3]
	v_and_b32_e32 v9, 0xffff0000, v22
	v_and_b32_e32 v5, 0xffff0000, v5
	v_mul_f32_e32 v9, v9, v5
	v_and_b32_e32 v5, 0x7f800000, v9
	v_cmp_ne_u32_e32 vcc, s4, v5
                                        ; implicit-def: $vgpr5
	s_and_saveexec_b64 s[2:3], vcc
	s_xor_b64 s[2:3], exec, s[2:3]
; %bb.115:                              ;   in Loop: Header=BB47_54 Depth=1
	v_bfe_u32 v5, v9, 16, 1
	v_add3_u32 v5, v9, v5, s5
                                        ; implicit-def: $vgpr9
; %bb.116:                              ;   in Loop: Header=BB47_54 Depth=1
	s_andn2_saveexec_b64 s[2:3], s[2:3]
	s_cbranch_execz .LBB47_53
; %bb.117:                              ;   in Loop: Header=BB47_54 Depth=1
	v_or_b32_e32 v5, 0x10000, v9
	v_cmp_eq_u32_sdwa vcc, v9, v1 src0_sel:WORD_0 src1_sel:DWORD
	v_cndmask_b32_e32 v5, v5, v9, vcc
	s_branch .LBB47_53
.LBB47_118:
	s_endpgm
	.section	.rodata,"a",@progbits
	.p2align	6, 0x0
	.amdhsa_kernel _ZN4vllm25fused_add_rms_norm_kernelIN3c108BFloat16ELi8EEENSt9enable_ifIXaagtT0_Li0Esr12_typeConvertIT_EE6existsEvE4typeEPS4_lS7_PKS4_fii
		.amdhsa_group_segment_fixed_size 68
		.amdhsa_private_segment_fixed_size 0
		.amdhsa_kernarg_size 304
		.amdhsa_user_sgpr_count 6
		.amdhsa_user_sgpr_private_segment_buffer 1
		.amdhsa_user_sgpr_dispatch_ptr 0
		.amdhsa_user_sgpr_queue_ptr 0
		.amdhsa_user_sgpr_kernarg_segment_ptr 1
		.amdhsa_user_sgpr_dispatch_id 0
		.amdhsa_user_sgpr_flat_scratch_init 0
		.amdhsa_user_sgpr_kernarg_preload_length 0
		.amdhsa_user_sgpr_kernarg_preload_offset 0
		.amdhsa_user_sgpr_private_segment_size 0
		.amdhsa_uses_dynamic_stack 0
		.amdhsa_system_sgpr_private_segment_wavefront_offset 0
		.amdhsa_system_sgpr_workgroup_id_x 1
		.amdhsa_system_sgpr_workgroup_id_y 0
		.amdhsa_system_sgpr_workgroup_id_z 0
		.amdhsa_system_sgpr_workgroup_info 0
		.amdhsa_system_vgpr_workitem_id 0
		.amdhsa_next_free_vgpr 40
		.amdhsa_next_free_sgpr 29
		.amdhsa_accum_offset 40
		.amdhsa_reserve_vcc 1
		.amdhsa_reserve_flat_scratch 0
		.amdhsa_float_round_mode_32 0
		.amdhsa_float_round_mode_16_64 0
		.amdhsa_float_denorm_mode_32 3
		.amdhsa_float_denorm_mode_16_64 3
		.amdhsa_dx10_clamp 1
		.amdhsa_ieee_mode 1
		.amdhsa_fp16_overflow 0
		.amdhsa_tg_split 0
		.amdhsa_exception_fp_ieee_invalid_op 0
		.amdhsa_exception_fp_denorm_src 0
		.amdhsa_exception_fp_ieee_div_zero 0
		.amdhsa_exception_fp_ieee_overflow 0
		.amdhsa_exception_fp_ieee_underflow 0
		.amdhsa_exception_fp_ieee_inexact 0
		.amdhsa_exception_int_div_zero 0
	.end_amdhsa_kernel
	.section	.text._ZN4vllm25fused_add_rms_norm_kernelIN3c108BFloat16ELi8EEENSt9enable_ifIXaagtT0_Li0Esr12_typeConvertIT_EE6existsEvE4typeEPS4_lS7_PKS4_fii,"axG",@progbits,_ZN4vllm25fused_add_rms_norm_kernelIN3c108BFloat16ELi8EEENSt9enable_ifIXaagtT0_Li0Esr12_typeConvertIT_EE6existsEvE4typeEPS4_lS7_PKS4_fii,comdat
.Lfunc_end47:
	.size	_ZN4vllm25fused_add_rms_norm_kernelIN3c108BFloat16ELi8EEENSt9enable_ifIXaagtT0_Li0Esr12_typeConvertIT_EE6existsEvE4typeEPS4_lS7_PKS4_fii, .Lfunc_end47-_ZN4vllm25fused_add_rms_norm_kernelIN3c108BFloat16ELi8EEENSt9enable_ifIXaagtT0_Li0Esr12_typeConvertIT_EE6existsEvE4typeEPS4_lS7_PKS4_fii
                                        ; -- End function
	.section	.AMDGPU.csdata,"",@progbits
; Kernel info:
; codeLenInByte = 6704
; NumSgprs: 33
; NumVgprs: 40
; NumAgprs: 0
; TotalNumVgprs: 40
; ScratchSize: 0
; MemoryBound: 0
; FloatMode: 240
; IeeeMode: 1
; LDSByteSize: 68 bytes/workgroup (compile time only)
; SGPRBlocks: 4
; VGPRBlocks: 4
; NumSGPRsForWavesPerEU: 33
; NumVGPRsForWavesPerEU: 40
; AccumOffset: 40
; Occupancy: 8
; WaveLimiterHint : 0
; COMPUTE_PGM_RSRC2:SCRATCH_EN: 0
; COMPUTE_PGM_RSRC2:USER_SGPR: 6
; COMPUTE_PGM_RSRC2:TRAP_HANDLER: 0
; COMPUTE_PGM_RSRC2:TGID_X_EN: 1
; COMPUTE_PGM_RSRC2:TGID_Y_EN: 0
; COMPUTE_PGM_RSRC2:TGID_Z_EN: 0
; COMPUTE_PGM_RSRC2:TIDIG_COMP_CNT: 0
; COMPUTE_PGM_RSRC3_GFX90A:ACCUM_OFFSET: 9
; COMPUTE_PGM_RSRC3_GFX90A:TG_SPLIT: 0
	.section	.text._ZN4vllm25fused_add_rms_norm_kernelIfLi0EEENSt9enable_ifIXooeqT0_Li0Entsr12_typeConvertIT_EE6existsEvE4typeEPS2_lS5_PKS2_fii,"axG",@progbits,_ZN4vllm25fused_add_rms_norm_kernelIfLi0EEENSt9enable_ifIXooeqT0_Li0Entsr12_typeConvertIT_EE6existsEvE4typeEPS2_lS5_PKS2_fii,comdat
	.protected	_ZN4vllm25fused_add_rms_norm_kernelIfLi0EEENSt9enable_ifIXooeqT0_Li0Entsr12_typeConvertIT_EE6existsEvE4typeEPS2_lS5_PKS2_fii ; -- Begin function _ZN4vllm25fused_add_rms_norm_kernelIfLi0EEENSt9enable_ifIXooeqT0_Li0Entsr12_typeConvertIT_EE6existsEvE4typeEPS2_lS5_PKS2_fii
	.globl	_ZN4vllm25fused_add_rms_norm_kernelIfLi0EEENSt9enable_ifIXooeqT0_Li0Entsr12_typeConvertIT_EE6existsEvE4typeEPS2_lS5_PKS2_fii
	.p2align	8
	.type	_ZN4vllm25fused_add_rms_norm_kernelIfLi0EEENSt9enable_ifIXooeqT0_Li0Entsr12_typeConvertIT_EE6existsEvE4typeEPS2_lS5_PKS2_fii,@function
_ZN4vllm25fused_add_rms_norm_kernelIfLi0EEENSt9enable_ifIXooeqT0_Li0Entsr12_typeConvertIT_EE6existsEvE4typeEPS2_lS5_PKS2_fii: ; @_ZN4vllm25fused_add_rms_norm_kernelIfLi0EEENSt9enable_ifIXooeqT0_Li0Entsr12_typeConvertIT_EE6existsEvE4typeEPS2_lS5_PKS2_fii
; %bb.0:
	s_load_dword s16, s[4:5], 0x28
	s_load_dwordx4 s[8:11], s[4:5], 0x0
	s_load_dwordx2 s[12:13], s[4:5], 0x10
                                        ; implicit-def: $sgpr17
                                        ; implicit-def: $sgpr7
	s_waitcnt lgkmcnt(0)
	v_cmp_gt_i32_e64 s[0:1], s16, v0
	v_cmp_le_i32_e32 vcc, s16, v0
	s_and_saveexec_b64 s[2:3], vcc
	s_xor_b64 s[2:3], exec, s[2:3]
	s_cbranch_execz .LBB48_2
; %bb.1:
	s_load_dword s7, s[4:5], 0x3c
	s_mov_b32 s17, 0
	s_waitcnt lgkmcnt(0)
	s_and_b32 s7, s7, 0xffff
.LBB48_2:
	s_or_saveexec_b64 s[2:3], s[2:3]
	s_load_dwordx2 s[14:15], s[4:5], 0x18
	v_mov_b32_e32 v6, s17
	v_mov_b32_e32 v4, s7
	s_mul_i32 s17, s6, s16
	s_mul_i32 s18, s6, s11
	s_mul_hi_u32 s19, s6, s10
	s_mul_i32 s6, s6, s10
	s_xor_b64 exec, exec, s[2:3]
	s_cbranch_execz .LBB48_6
; %bb.3:
	s_load_dword s21, s[4:5], 0x3c
	s_add_i32 s7, s19, s18
	s_lshl_b64 s[10:11], s[6:7], 2
	s_add_u32 s20, s8, s10
	s_addc_u32 s22, s9, s11
	s_waitcnt lgkmcnt(0)
	s_and_b32 s7, s21, 0xffff
	s_mov_b64 s[10:11], 0
	v_mov_b32_e32 v3, 0
	v_mov_b32_e32 v1, s22
	;; [unrolled: 1-line block ×5, first 2 shown]
.LBB48_4:                               ; =>This Inner Loop Header: Depth=1
	v_ashrrev_i32_e32 v5, 31, v4
	v_lshlrev_b64 v[8:9], 2, v[4:5]
	v_add_co_u32_e32 v8, vcc, s20, v8
	v_addc_co_u32_e32 v9, vcc, v1, v9, vcc
	v_add_u32_e32 v2, s17, v4
	global_load_dword v5, v[8:9], off
	v_lshlrev_b64 v[8:9], 2, v[2:3]
	v_add_co_u32_e32 v8, vcc, s12, v8
	v_addc_co_u32_e32 v9, vcc, v7, v9, vcc
	global_load_dword v2, v[8:9], off
	v_add_u32_e32 v4, s7, v4
	v_cmp_le_i32_e32 vcc, s16, v4
	s_or_b64 s[10:11], vcc, s[10:11]
	s_waitcnt vmcnt(0)
	v_add_f32_e32 v2, v5, v2
	v_fmac_f32_e32 v6, v2, v2
	global_store_dword v[8:9], v2, off
	s_andn2_b64 exec, exec, s[10:11]
	s_cbranch_execnz .LBB48_4
; %bb.5:
	s_or_b64 exec, exec, s[10:11]
	v_mov_b32_e32 v4, s7
.LBB48_6:
	s_or_b64 exec, exec, s[2:3]
	v_mbcnt_lo_u32_b32 v1, -1, 0
	v_mbcnt_hi_u32_b32 v1, -1, v1
	v_and_b32_e32 v2, 63, v1
	v_cmp_ne_u32_e32 vcc, 63, v2
	v_addc_co_u32_e32 v3, vcc, 0, v1, vcc
	v_lshlrev_b32_e32 v3, 2, v3
	ds_bpermute_b32 v3, v3, v6
	v_and_b32_e32 v5, 0x3c0, v0
	v_sub_u32_e64 v5, v4, v5 clamp
	v_add_u32_e32 v7, 1, v1
	v_cmp_lt_u32_e32 vcc, v7, v5
	s_waitcnt lgkmcnt(0)
	v_add_f32_e32 v3, v6, v3
	v_cndmask_b32_e32 v3, v6, v3, vcc
	v_cmp_gt_u32_e32 vcc, 62, v2
	v_cndmask_b32_e64 v6, 0, 1, vcc
	v_lshlrev_b32_e32 v6, 1, v6
	v_add_lshl_u32 v6, v6, v1, 2
	ds_bpermute_b32 v6, v6, v3
	v_add_u32_e32 v7, 2, v1
	v_cmp_lt_u32_e32 vcc, v7, v5
	v_add_u32_e32 v7, 4, v1
	s_waitcnt lgkmcnt(0)
	v_add_f32_e32 v6, v3, v6
	v_cndmask_b32_e32 v3, v3, v6, vcc
	v_cmp_gt_u32_e32 vcc, 60, v2
	v_cndmask_b32_e64 v6, 0, 1, vcc
	v_lshlrev_b32_e32 v6, 2, v6
	v_add_lshl_u32 v6, v6, v1, 2
	ds_bpermute_b32 v6, v6, v3
	v_cmp_lt_u32_e32 vcc, v7, v5
	v_add_u32_e32 v7, 8, v1
	s_waitcnt lgkmcnt(0)
	v_add_f32_e32 v6, v3, v6
	v_cndmask_b32_e32 v3, v3, v6, vcc
	v_cmp_gt_u32_e32 vcc, 56, v2
	v_cndmask_b32_e64 v6, 0, 1, vcc
	v_lshlrev_b32_e32 v6, 3, v6
	v_add_lshl_u32 v6, v6, v1, 2
	ds_bpermute_b32 v6, v6, v3
	;; [unrolled: 10-line block ×3, first 2 shown]
	v_cmp_lt_u32_e32 vcc, v7, v5
	s_waitcnt lgkmcnt(0)
	v_add_f32_e32 v6, v3, v6
	v_cndmask_b32_e32 v3, v3, v6, vcc
	v_cmp_gt_u32_e32 vcc, 32, v2
	v_cndmask_b32_e64 v2, 0, 1, vcc
	v_lshlrev_b32_e32 v2, 5, v2
	v_add_lshl_u32 v2, v2, v1, 2
	ds_bpermute_b32 v2, v2, v3
	v_add_u32_e32 v6, 32, v1
	v_cmp_lt_u32_e32 vcc, v6, v5
	s_waitcnt lgkmcnt(0)
	v_add_f32_e32 v2, v3, v2
	v_cndmask_b32_e32 v2, v3, v2, vcc
	v_cmp_eq_u32_e32 vcc, 0, v1
	s_and_saveexec_b64 s[2:3], vcc
	s_cbranch_execz .LBB48_8
; %bb.7:
	v_lshrrev_b32_e32 v3, 4, v0
	v_and_b32_e32 v3, 60, v3
	ds_write_b32 v3, v2
.LBB48_8:
	s_or_b64 exec, exec, s[2:3]
	v_cmp_gt_u32_e32 vcc, 16, v0
	s_waitcnt lgkmcnt(0)
	s_barrier
	s_and_saveexec_b64 s[10:11], vcc
	s_cbranch_execz .LBB48_10
; %bb.9:
	v_lshlrev_b32_e32 v2, 2, v1
	ds_read_b32 v2, v2
	v_and_b32_e32 v3, 15, v1
	v_cmp_ne_u32_e32 vcc, 15, v3
	v_addc_co_u32_e32 v5, vcc, 0, v1, vcc
	v_lshlrev_b32_e32 v5, 2, v5
	s_waitcnt lgkmcnt(0)
	ds_bpermute_b32 v5, v5, v2
	v_add_u32_e32 v6, 63, v4
	v_lshrrev_b32_e32 v6, 6, v6
	v_add_u32_e32 v7, 1, v3
	v_cmp_gt_u32_e64 s[2:3], 14, v3
	v_cmp_lt_u32_e32 vcc, v7, v6
	v_cndmask_b32_e64 v7, 0, 1, s[2:3]
	s_waitcnt lgkmcnt(0)
	v_add_f32_e32 v5, v2, v5
	v_lshlrev_b32_e32 v7, 1, v7
	v_cndmask_b32_e32 v5, v2, v5, vcc
	v_add_lshl_u32 v7, v7, v1, 2
	ds_bpermute_b32 v7, v7, v5
	v_add_u32_e32 v8, 2, v3
	v_cmp_lt_u32_e64 s[2:3], v8, v6
	v_add_u32_e32 v8, 4, v3
	s_waitcnt lgkmcnt(0)
	v_add_f32_e32 v7, v5, v7
	v_cndmask_b32_e64 v5, v5, v7, s[2:3]
	v_cmp_gt_u32_e64 s[2:3], 12, v3
	v_cndmask_b32_e64 v7, 0, 1, s[2:3]
	v_lshlrev_b32_e32 v7, 2, v7
	v_add_lshl_u32 v7, v7, v1, 2
	ds_bpermute_b32 v7, v7, v5
	v_cmp_lt_u32_e64 s[2:3], v8, v6
	s_waitcnt lgkmcnt(0)
	v_add_f32_e32 v7, v5, v7
	v_cndmask_b32_e64 v5, v5, v7, s[2:3]
	v_cmp_gt_u32_e64 s[2:3], 8, v3
	v_cndmask_b32_e64 v7, 0, 1, s[2:3]
	v_lshlrev_b32_e32 v7, 3, v7
	v_add_lshl_u32 v1, v7, v1, 2
	ds_bpermute_b32 v1, v1, v5
	v_add_u32_e32 v3, 8, v3
	v_cmp_lt_u32_e64 s[2:3], v3, v6
	s_waitcnt lgkmcnt(0)
	v_add_f32_e32 v1, v5, v1
	v_cndmask_b32_e64 v1, v5, v1, s[2:3]
	v_cndmask_b32_e32 v2, v2, v1, vcc
.LBB48_10:
	s_or_b64 exec, exec, s[10:11]
	v_cmp_eq_u32_e32 vcc, 0, v0
	s_and_saveexec_b64 s[2:3], vcc
	s_cbranch_execz .LBB48_12
; %bb.11:
	v_cvt_f32_i32_e32 v1, s16
	s_load_dword s7, s[4:5], 0x20
	v_div_scale_f32 v3, s[4:5], v1, v1, v2
	v_rcp_f32_e32 v5, v3
	v_div_scale_f32 v6, vcc, v2, v1, v2
	s_mov_b32 s4, 0x800000
	v_fma_f32 v7, -v3, v5, 1.0
	v_fmac_f32_e32 v5, v7, v5
	v_mul_f32_e32 v7, v6, v5
	v_fma_f32 v8, -v3, v7, v6
	v_fmac_f32_e32 v7, v8, v5
	v_fma_f32 v3, -v3, v7, v6
	v_div_fmas_f32 v3, v3, v5, v7
	v_div_fixup_f32 v1, v3, v1, v2
	s_waitcnt lgkmcnt(0)
	v_add_f32_e32 v1, s7, v1
	v_mul_f32_e32 v2, 0x4b800000, v1
	v_cmp_gt_f32_e32 vcc, s4, v1
	v_cndmask_b32_e32 v1, v1, v2, vcc
	v_rsq_f32_e32 v1, v1
	v_mul_f32_e32 v2, 0x45800000, v1
	v_cndmask_b32_e32 v1, v1, v2, vcc
	v_mov_b32_e32 v2, 0
	ds_write_b32 v2, v1 offset:64
.LBB48_12:
	s_or_b64 exec, exec, s[2:3]
	s_waitcnt lgkmcnt(0)
	s_barrier
	s_and_saveexec_b64 s[2:3], s[0:1]
	s_cbranch_execz .LBB48_15
; %bb.13:
	v_mov_b32_e32 v3, 0
	ds_read_b32 v5, v3 offset:64
	s_add_i32 s7, s19, s18
	s_lshl_b64 s[0:1], s[6:7], 2
	s_add_u32 s2, s8, s0
	s_addc_u32 s3, s9, s1
	s_mov_b64 s[0:1], 0
	v_mov_b32_e32 v6, s13
	v_mov_b32_e32 v7, s15
	;; [unrolled: 1-line block ×3, first 2 shown]
.LBB48_14:                              ; =>This Inner Loop Header: Depth=1
	v_add_u32_e32 v2, s17, v0
	v_lshlrev_b64 v[10:11], 2, v[2:3]
	v_ashrrev_i32_e32 v1, 31, v0
	v_add_co_u32_e32 v10, vcc, s12, v10
	v_lshlrev_b64 v[12:13], 2, v[0:1]
	v_addc_co_u32_e32 v11, vcc, v6, v11, vcc
	v_add_co_u32_e32 v14, vcc, s14, v12
	v_addc_co_u32_e32 v15, vcc, v7, v13, vcc
	global_load_dword v1, v[10:11], off
	global_load_dword v2, v[14:15], off
	v_add_co_u32_e32 v10, vcc, s2, v12
	v_add_u32_e32 v0, v0, v4
	v_addc_co_u32_e32 v11, vcc, v8, v13, vcc
	v_cmp_le_i32_e32 vcc, s16, v0
	s_or_b64 s[0:1], vcc, s[0:1]
	s_waitcnt vmcnt(1) lgkmcnt(0)
	v_mul_f32_e32 v1, v1, v5
	s_waitcnt vmcnt(0)
	v_mul_f32_e32 v1, v1, v2
	global_store_dword v[10:11], v1, off
	s_andn2_b64 exec, exec, s[0:1]
	s_cbranch_execnz .LBB48_14
.LBB48_15:
	s_endpgm
	.section	.rodata,"a",@progbits
	.p2align	6, 0x0
	.amdhsa_kernel _ZN4vllm25fused_add_rms_norm_kernelIfLi0EEENSt9enable_ifIXooeqT0_Li0Entsr12_typeConvertIT_EE6existsEvE4typeEPS2_lS5_PKS2_fii
		.amdhsa_group_segment_fixed_size 68
		.amdhsa_private_segment_fixed_size 0
		.amdhsa_kernarg_size 304
		.amdhsa_user_sgpr_count 6
		.amdhsa_user_sgpr_private_segment_buffer 1
		.amdhsa_user_sgpr_dispatch_ptr 0
		.amdhsa_user_sgpr_queue_ptr 0
		.amdhsa_user_sgpr_kernarg_segment_ptr 1
		.amdhsa_user_sgpr_dispatch_id 0
		.amdhsa_user_sgpr_flat_scratch_init 0
		.amdhsa_user_sgpr_kernarg_preload_length 0
		.amdhsa_user_sgpr_kernarg_preload_offset 0
		.amdhsa_user_sgpr_private_segment_size 0
		.amdhsa_uses_dynamic_stack 0
		.amdhsa_system_sgpr_private_segment_wavefront_offset 0
		.amdhsa_system_sgpr_workgroup_id_x 1
		.amdhsa_system_sgpr_workgroup_id_y 0
		.amdhsa_system_sgpr_workgroup_id_z 0
		.amdhsa_system_sgpr_workgroup_info 0
		.amdhsa_system_vgpr_workitem_id 0
		.amdhsa_next_free_vgpr 16
		.amdhsa_next_free_sgpr 23
		.amdhsa_accum_offset 16
		.amdhsa_reserve_vcc 1
		.amdhsa_reserve_flat_scratch 0
		.amdhsa_float_round_mode_32 0
		.amdhsa_float_round_mode_16_64 0
		.amdhsa_float_denorm_mode_32 3
		.amdhsa_float_denorm_mode_16_64 3
		.amdhsa_dx10_clamp 1
		.amdhsa_ieee_mode 1
		.amdhsa_fp16_overflow 0
		.amdhsa_tg_split 0
		.amdhsa_exception_fp_ieee_invalid_op 0
		.amdhsa_exception_fp_denorm_src 0
		.amdhsa_exception_fp_ieee_div_zero 0
		.amdhsa_exception_fp_ieee_overflow 0
		.amdhsa_exception_fp_ieee_underflow 0
		.amdhsa_exception_fp_ieee_inexact 0
		.amdhsa_exception_int_div_zero 0
	.end_amdhsa_kernel
	.section	.text._ZN4vllm25fused_add_rms_norm_kernelIfLi0EEENSt9enable_ifIXooeqT0_Li0Entsr12_typeConvertIT_EE6existsEvE4typeEPS2_lS5_PKS2_fii,"axG",@progbits,_ZN4vllm25fused_add_rms_norm_kernelIfLi0EEENSt9enable_ifIXooeqT0_Li0Entsr12_typeConvertIT_EE6existsEvE4typeEPS2_lS5_PKS2_fii,comdat
.Lfunc_end48:
	.size	_ZN4vllm25fused_add_rms_norm_kernelIfLi0EEENSt9enable_ifIXooeqT0_Li0Entsr12_typeConvertIT_EE6existsEvE4typeEPS2_lS5_PKS2_fii, .Lfunc_end48-_ZN4vllm25fused_add_rms_norm_kernelIfLi0EEENSt9enable_ifIXooeqT0_Li0Entsr12_typeConvertIT_EE6existsEvE4typeEPS2_lS5_PKS2_fii
                                        ; -- End function
	.section	.AMDGPU.csdata,"",@progbits
; Kernel info:
; codeLenInByte = 1276
; NumSgprs: 27
; NumVgprs: 16
; NumAgprs: 0
; TotalNumVgprs: 16
; ScratchSize: 0
; MemoryBound: 0
; FloatMode: 240
; IeeeMode: 1
; LDSByteSize: 68 bytes/workgroup (compile time only)
; SGPRBlocks: 3
; VGPRBlocks: 1
; NumSGPRsForWavesPerEU: 27
; NumVGPRsForWavesPerEU: 16
; AccumOffset: 16
; Occupancy: 8
; WaveLimiterHint : 0
; COMPUTE_PGM_RSRC2:SCRATCH_EN: 0
; COMPUTE_PGM_RSRC2:USER_SGPR: 6
; COMPUTE_PGM_RSRC2:TRAP_HANDLER: 0
; COMPUTE_PGM_RSRC2:TGID_X_EN: 1
; COMPUTE_PGM_RSRC2:TGID_Y_EN: 0
; COMPUTE_PGM_RSRC2:TGID_Z_EN: 0
; COMPUTE_PGM_RSRC2:TIDIG_COMP_CNT: 0
; COMPUTE_PGM_RSRC3_GFX90A:ACCUM_OFFSET: 3
; COMPUTE_PGM_RSRC3_GFX90A:TG_SPLIT: 0
	.section	.text._ZN4vllm25fused_add_rms_norm_kernelIN3c104HalfELi0EEENSt9enable_ifIXooeqT0_Li0Entsr12_typeConvertIT_EE6existsEvE4typeEPS4_lS7_PKS4_fii,"axG",@progbits,_ZN4vllm25fused_add_rms_norm_kernelIN3c104HalfELi0EEENSt9enable_ifIXooeqT0_Li0Entsr12_typeConvertIT_EE6existsEvE4typeEPS4_lS7_PKS4_fii,comdat
	.protected	_ZN4vllm25fused_add_rms_norm_kernelIN3c104HalfELi0EEENSt9enable_ifIXooeqT0_Li0Entsr12_typeConvertIT_EE6existsEvE4typeEPS4_lS7_PKS4_fii ; -- Begin function _ZN4vllm25fused_add_rms_norm_kernelIN3c104HalfELi0EEENSt9enable_ifIXooeqT0_Li0Entsr12_typeConvertIT_EE6existsEvE4typeEPS4_lS7_PKS4_fii
	.globl	_ZN4vllm25fused_add_rms_norm_kernelIN3c104HalfELi0EEENSt9enable_ifIXooeqT0_Li0Entsr12_typeConvertIT_EE6existsEvE4typeEPS4_lS7_PKS4_fii
	.p2align	8
	.type	_ZN4vllm25fused_add_rms_norm_kernelIN3c104HalfELi0EEENSt9enable_ifIXooeqT0_Li0Entsr12_typeConvertIT_EE6existsEvE4typeEPS4_lS7_PKS4_fii,@function
_ZN4vllm25fused_add_rms_norm_kernelIN3c104HalfELi0EEENSt9enable_ifIXooeqT0_Li0Entsr12_typeConvertIT_EE6existsEvE4typeEPS4_lS7_PKS4_fii: ; @_ZN4vllm25fused_add_rms_norm_kernelIN3c104HalfELi0EEENSt9enable_ifIXooeqT0_Li0Entsr12_typeConvertIT_EE6existsEvE4typeEPS4_lS7_PKS4_fii
; %bb.0:
	s_load_dword s16, s[4:5], 0x28
	s_load_dwordx4 s[8:11], s[4:5], 0x0
	s_load_dwordx2 s[12:13], s[4:5], 0x10
                                        ; implicit-def: $sgpr17
                                        ; implicit-def: $sgpr7
	s_waitcnt lgkmcnt(0)
	v_cmp_gt_i32_e64 s[0:1], s16, v0
	v_cmp_le_i32_e32 vcc, s16, v0
	s_and_saveexec_b64 s[2:3], vcc
	s_xor_b64 s[2:3], exec, s[2:3]
	s_cbranch_execz .LBB49_2
; %bb.1:
	s_load_dword s7, s[4:5], 0x3c
	s_mov_b32 s17, 0
	s_waitcnt lgkmcnt(0)
	s_and_b32 s7, s7, 0xffff
.LBB49_2:
	s_or_saveexec_b64 s[2:3], s[2:3]
	s_load_dwordx2 s[14:15], s[4:5], 0x18
	v_mov_b32_e32 v6, s17
	v_mov_b32_e32 v4, s7
	s_mul_i32 s17, s6, s16
	s_mul_i32 s18, s6, s11
	s_mul_hi_u32 s19, s6, s10
	s_mul_i32 s6, s6, s10
	s_xor_b64 exec, exec, s[2:3]
	s_cbranch_execz .LBB49_6
; %bb.3:
	s_load_dword s21, s[4:5], 0x3c
	s_add_i32 s7, s19, s18
	s_lshl_b64 s[10:11], s[6:7], 1
	s_add_u32 s20, s8, s10
	s_addc_u32 s22, s9, s11
	s_waitcnt lgkmcnt(0)
	s_and_b32 s7, s21, 0xffff
	s_mov_b64 s[10:11], 0
	v_mov_b32_e32 v3, 0
	v_mov_b32_e32 v1, s22
	v_mov_b32_e32 v7, s13
	v_mov_b32_e32 v6, 0
	v_mov_b32_e32 v4, v0
.LBB49_4:                               ; =>This Inner Loop Header: Depth=1
	v_ashrrev_i32_e32 v5, 31, v4
	v_lshlrev_b64 v[8:9], 1, v[4:5]
	v_add_co_u32_e32 v8, vcc, s20, v8
	v_addc_co_u32_e32 v9, vcc, v1, v9, vcc
	v_add_u32_e32 v2, s17, v4
	global_load_ushort v5, v[8:9], off
	v_lshlrev_b64 v[8:9], 1, v[2:3]
	v_add_co_u32_e32 v8, vcc, s12, v8
	v_addc_co_u32_e32 v9, vcc, v7, v9, vcc
	global_load_ushort v2, v[8:9], off
	v_add_u32_e32 v4, s7, v4
	v_cmp_le_i32_e32 vcc, s16, v4
	s_or_b64 s[10:11], vcc, s[10:11]
	s_waitcnt vmcnt(0)
	v_add_f16_e32 v2, v5, v2
	v_fma_mix_f32 v6, v2, v2, v6 op_sel_hi:[1,1,0]
	global_store_short v[8:9], v2, off
	s_andn2_b64 exec, exec, s[10:11]
	s_cbranch_execnz .LBB49_4
; %bb.5:
	s_or_b64 exec, exec, s[10:11]
	v_mov_b32_e32 v4, s7
.LBB49_6:
	s_or_b64 exec, exec, s[2:3]
	v_mbcnt_lo_u32_b32 v1, -1, 0
	v_mbcnt_hi_u32_b32 v1, -1, v1
	v_and_b32_e32 v2, 63, v1
	v_cmp_ne_u32_e32 vcc, 63, v2
	v_addc_co_u32_e32 v3, vcc, 0, v1, vcc
	v_lshlrev_b32_e32 v3, 2, v3
	ds_bpermute_b32 v3, v3, v6
	v_and_b32_e32 v5, 0x3c0, v0
	v_sub_u32_e64 v5, v4, v5 clamp
	v_add_u32_e32 v7, 1, v1
	v_cmp_lt_u32_e32 vcc, v7, v5
	s_waitcnt lgkmcnt(0)
	v_add_f32_e32 v3, v6, v3
	v_cndmask_b32_e32 v3, v6, v3, vcc
	v_cmp_gt_u32_e32 vcc, 62, v2
	v_cndmask_b32_e64 v6, 0, 1, vcc
	v_lshlrev_b32_e32 v6, 1, v6
	v_add_lshl_u32 v6, v6, v1, 2
	ds_bpermute_b32 v6, v6, v3
	v_add_u32_e32 v7, 2, v1
	v_cmp_lt_u32_e32 vcc, v7, v5
	v_add_u32_e32 v7, 4, v1
	s_waitcnt lgkmcnt(0)
	v_add_f32_e32 v6, v3, v6
	v_cndmask_b32_e32 v3, v3, v6, vcc
	v_cmp_gt_u32_e32 vcc, 60, v2
	v_cndmask_b32_e64 v6, 0, 1, vcc
	v_lshlrev_b32_e32 v6, 2, v6
	v_add_lshl_u32 v6, v6, v1, 2
	ds_bpermute_b32 v6, v6, v3
	v_cmp_lt_u32_e32 vcc, v7, v5
	v_add_u32_e32 v7, 8, v1
	s_waitcnt lgkmcnt(0)
	v_add_f32_e32 v6, v3, v6
	v_cndmask_b32_e32 v3, v3, v6, vcc
	v_cmp_gt_u32_e32 vcc, 56, v2
	v_cndmask_b32_e64 v6, 0, 1, vcc
	v_lshlrev_b32_e32 v6, 3, v6
	v_add_lshl_u32 v6, v6, v1, 2
	ds_bpermute_b32 v6, v6, v3
	v_cmp_lt_u32_e32 vcc, v7, v5
	v_add_u32_e32 v7, 16, v1
	s_waitcnt lgkmcnt(0)
	v_add_f32_e32 v6, v3, v6
	v_cndmask_b32_e32 v3, v3, v6, vcc
	v_cmp_gt_u32_e32 vcc, 48, v2
	v_cndmask_b32_e64 v6, 0, 1, vcc
	v_lshlrev_b32_e32 v6, 4, v6
	v_add_lshl_u32 v6, v6, v1, 2
	ds_bpermute_b32 v6, v6, v3
	v_cmp_lt_u32_e32 vcc, v7, v5
	s_waitcnt lgkmcnt(0)
	v_add_f32_e32 v6, v3, v6
	v_cndmask_b32_e32 v3, v3, v6, vcc
	v_cmp_gt_u32_e32 vcc, 32, v2
	v_cndmask_b32_e64 v2, 0, 1, vcc
	v_lshlrev_b32_e32 v2, 5, v2
	v_add_lshl_u32 v2, v2, v1, 2
	ds_bpermute_b32 v2, v2, v3
	v_add_u32_e32 v6, 32, v1
	v_cmp_lt_u32_e32 vcc, v6, v5
	s_waitcnt lgkmcnt(0)
	v_add_f32_e32 v2, v3, v2
	v_cndmask_b32_e32 v2, v3, v2, vcc
	v_cmp_eq_u32_e32 vcc, 0, v1
	s_and_saveexec_b64 s[2:3], vcc
	s_cbranch_execz .LBB49_8
; %bb.7:
	v_lshrrev_b32_e32 v3, 4, v0
	v_and_b32_e32 v3, 60, v3
	ds_write_b32 v3, v2
.LBB49_8:
	s_or_b64 exec, exec, s[2:3]
	v_cmp_gt_u32_e32 vcc, 16, v0
	s_waitcnt lgkmcnt(0)
	s_barrier
	s_and_saveexec_b64 s[10:11], vcc
	s_cbranch_execz .LBB49_10
; %bb.9:
	v_lshlrev_b32_e32 v2, 2, v1
	ds_read_b32 v2, v2
	v_and_b32_e32 v3, 15, v1
	v_cmp_ne_u32_e32 vcc, 15, v3
	v_addc_co_u32_e32 v5, vcc, 0, v1, vcc
	v_lshlrev_b32_e32 v5, 2, v5
	s_waitcnt lgkmcnt(0)
	ds_bpermute_b32 v5, v5, v2
	v_add_u32_e32 v6, 63, v4
	v_lshrrev_b32_e32 v6, 6, v6
	v_add_u32_e32 v7, 1, v3
	v_cmp_gt_u32_e64 s[2:3], 14, v3
	v_cmp_lt_u32_e32 vcc, v7, v6
	v_cndmask_b32_e64 v7, 0, 1, s[2:3]
	s_waitcnt lgkmcnt(0)
	v_add_f32_e32 v5, v2, v5
	v_lshlrev_b32_e32 v7, 1, v7
	v_cndmask_b32_e32 v5, v2, v5, vcc
	v_add_lshl_u32 v7, v7, v1, 2
	ds_bpermute_b32 v7, v7, v5
	v_add_u32_e32 v8, 2, v3
	v_cmp_lt_u32_e64 s[2:3], v8, v6
	v_add_u32_e32 v8, 4, v3
	s_waitcnt lgkmcnt(0)
	v_add_f32_e32 v7, v5, v7
	v_cndmask_b32_e64 v5, v5, v7, s[2:3]
	v_cmp_gt_u32_e64 s[2:3], 12, v3
	v_cndmask_b32_e64 v7, 0, 1, s[2:3]
	v_lshlrev_b32_e32 v7, 2, v7
	v_add_lshl_u32 v7, v7, v1, 2
	ds_bpermute_b32 v7, v7, v5
	v_cmp_lt_u32_e64 s[2:3], v8, v6
	s_waitcnt lgkmcnt(0)
	v_add_f32_e32 v7, v5, v7
	v_cndmask_b32_e64 v5, v5, v7, s[2:3]
	v_cmp_gt_u32_e64 s[2:3], 8, v3
	v_cndmask_b32_e64 v7, 0, 1, s[2:3]
	v_lshlrev_b32_e32 v7, 3, v7
	v_add_lshl_u32 v1, v7, v1, 2
	ds_bpermute_b32 v1, v1, v5
	v_add_u32_e32 v3, 8, v3
	v_cmp_lt_u32_e64 s[2:3], v3, v6
	s_waitcnt lgkmcnt(0)
	v_add_f32_e32 v1, v5, v1
	v_cndmask_b32_e64 v1, v5, v1, s[2:3]
	v_cndmask_b32_e32 v2, v2, v1, vcc
.LBB49_10:
	s_or_b64 exec, exec, s[10:11]
	v_cmp_eq_u32_e32 vcc, 0, v0
	s_and_saveexec_b64 s[2:3], vcc
	s_cbranch_execz .LBB49_12
; %bb.11:
	v_cvt_f32_i32_e32 v1, s16
	s_load_dword s7, s[4:5], 0x20
	v_div_scale_f32 v3, s[4:5], v1, v1, v2
	v_rcp_f32_e32 v5, v3
	v_div_scale_f32 v6, vcc, v2, v1, v2
	s_mov_b32 s4, 0x800000
	v_fma_f32 v7, -v3, v5, 1.0
	v_fmac_f32_e32 v5, v7, v5
	v_mul_f32_e32 v7, v6, v5
	v_fma_f32 v8, -v3, v7, v6
	v_fmac_f32_e32 v7, v8, v5
	v_fma_f32 v3, -v3, v7, v6
	v_div_fmas_f32 v3, v3, v5, v7
	v_div_fixup_f32 v1, v3, v1, v2
	s_waitcnt lgkmcnt(0)
	v_add_f32_e32 v1, s7, v1
	v_mul_f32_e32 v2, 0x4b800000, v1
	v_cmp_gt_f32_e32 vcc, s4, v1
	v_cndmask_b32_e32 v1, v1, v2, vcc
	v_rsq_f32_e32 v1, v1
	v_mul_f32_e32 v2, 0x45800000, v1
	v_cndmask_b32_e32 v1, v1, v2, vcc
	v_mov_b32_e32 v2, 0
	ds_write_b32 v2, v1 offset:64
.LBB49_12:
	s_or_b64 exec, exec, s[2:3]
	s_waitcnt lgkmcnt(0)
	s_barrier
	s_and_saveexec_b64 s[2:3], s[0:1]
	s_cbranch_execz .LBB49_15
; %bb.13:
	v_mov_b32_e32 v3, 0
	ds_read_b32 v5, v3 offset:64
	s_add_i32 s7, s19, s18
	s_lshl_b64 s[0:1], s[6:7], 1
	s_add_u32 s2, s8, s0
	s_addc_u32 s3, s9, s1
	s_mov_b64 s[0:1], 0
	v_mov_b32_e32 v6, s13
	v_mov_b32_e32 v7, s15
	v_mov_b32_e32 v8, s3
.LBB49_14:                              ; =>This Inner Loop Header: Depth=1
	v_add_u32_e32 v2, s17, v0
	v_lshlrev_b64 v[10:11], 1, v[2:3]
	v_ashrrev_i32_e32 v1, 31, v0
	v_add_co_u32_e32 v10, vcc, s12, v10
	v_lshlrev_b64 v[12:13], 1, v[0:1]
	v_addc_co_u32_e32 v11, vcc, v6, v11, vcc
	v_add_co_u32_e32 v14, vcc, s14, v12
	v_addc_co_u32_e32 v15, vcc, v7, v13, vcc
	global_load_ushort v1, v[10:11], off
	global_load_ushort v2, v[14:15], off
	v_add_co_u32_e32 v10, vcc, s2, v12
	v_add_u32_e32 v0, v0, v4
	v_addc_co_u32_e32 v11, vcc, v8, v13, vcc
	v_cmp_le_i32_e32 vcc, s16, v0
	s_or_b64 s[0:1], vcc, s[0:1]
	s_waitcnt vmcnt(1) lgkmcnt(0)
	v_fma_mixlo_f16 v1, v5, v1, 0 op_sel_hi:[0,1,0]
	s_waitcnt vmcnt(0)
	v_mul_f16_e32 v1, v2, v1
	global_store_short v[10:11], v1, off
	s_andn2_b64 exec, exec, s[0:1]
	s_cbranch_execnz .LBB49_14
.LBB49_15:
	s_endpgm
	.section	.rodata,"a",@progbits
	.p2align	6, 0x0
	.amdhsa_kernel _ZN4vllm25fused_add_rms_norm_kernelIN3c104HalfELi0EEENSt9enable_ifIXooeqT0_Li0Entsr12_typeConvertIT_EE6existsEvE4typeEPS4_lS7_PKS4_fii
		.amdhsa_group_segment_fixed_size 68
		.amdhsa_private_segment_fixed_size 0
		.amdhsa_kernarg_size 304
		.amdhsa_user_sgpr_count 6
		.amdhsa_user_sgpr_private_segment_buffer 1
		.amdhsa_user_sgpr_dispatch_ptr 0
		.amdhsa_user_sgpr_queue_ptr 0
		.amdhsa_user_sgpr_kernarg_segment_ptr 1
		.amdhsa_user_sgpr_dispatch_id 0
		.amdhsa_user_sgpr_flat_scratch_init 0
		.amdhsa_user_sgpr_kernarg_preload_length 0
		.amdhsa_user_sgpr_kernarg_preload_offset 0
		.amdhsa_user_sgpr_private_segment_size 0
		.amdhsa_uses_dynamic_stack 0
		.amdhsa_system_sgpr_private_segment_wavefront_offset 0
		.amdhsa_system_sgpr_workgroup_id_x 1
		.amdhsa_system_sgpr_workgroup_id_y 0
		.amdhsa_system_sgpr_workgroup_id_z 0
		.amdhsa_system_sgpr_workgroup_info 0
		.amdhsa_system_vgpr_workitem_id 0
		.amdhsa_next_free_vgpr 16
		.amdhsa_next_free_sgpr 23
		.amdhsa_accum_offset 16
		.amdhsa_reserve_vcc 1
		.amdhsa_reserve_flat_scratch 0
		.amdhsa_float_round_mode_32 0
		.amdhsa_float_round_mode_16_64 0
		.amdhsa_float_denorm_mode_32 3
		.amdhsa_float_denorm_mode_16_64 3
		.amdhsa_dx10_clamp 1
		.amdhsa_ieee_mode 1
		.amdhsa_fp16_overflow 0
		.amdhsa_tg_split 0
		.amdhsa_exception_fp_ieee_invalid_op 0
		.amdhsa_exception_fp_denorm_src 0
		.amdhsa_exception_fp_ieee_div_zero 0
		.amdhsa_exception_fp_ieee_overflow 0
		.amdhsa_exception_fp_ieee_underflow 0
		.amdhsa_exception_fp_ieee_inexact 0
		.amdhsa_exception_int_div_zero 0
	.end_amdhsa_kernel
	.section	.text._ZN4vllm25fused_add_rms_norm_kernelIN3c104HalfELi0EEENSt9enable_ifIXooeqT0_Li0Entsr12_typeConvertIT_EE6existsEvE4typeEPS4_lS7_PKS4_fii,"axG",@progbits,_ZN4vllm25fused_add_rms_norm_kernelIN3c104HalfELi0EEENSt9enable_ifIXooeqT0_Li0Entsr12_typeConvertIT_EE6existsEvE4typeEPS4_lS7_PKS4_fii,comdat
.Lfunc_end49:
	.size	_ZN4vllm25fused_add_rms_norm_kernelIN3c104HalfELi0EEENSt9enable_ifIXooeqT0_Li0Entsr12_typeConvertIT_EE6existsEvE4typeEPS4_lS7_PKS4_fii, .Lfunc_end49-_ZN4vllm25fused_add_rms_norm_kernelIN3c104HalfELi0EEENSt9enable_ifIXooeqT0_Li0Entsr12_typeConvertIT_EE6existsEvE4typeEPS4_lS7_PKS4_fii
                                        ; -- End function
	.section	.AMDGPU.csdata,"",@progbits
; Kernel info:
; codeLenInByte = 1284
; NumSgprs: 27
; NumVgprs: 16
; NumAgprs: 0
; TotalNumVgprs: 16
; ScratchSize: 0
; MemoryBound: 0
; FloatMode: 240
; IeeeMode: 1
; LDSByteSize: 68 bytes/workgroup (compile time only)
; SGPRBlocks: 3
; VGPRBlocks: 1
; NumSGPRsForWavesPerEU: 27
; NumVGPRsForWavesPerEU: 16
; AccumOffset: 16
; Occupancy: 8
; WaveLimiterHint : 0
; COMPUTE_PGM_RSRC2:SCRATCH_EN: 0
; COMPUTE_PGM_RSRC2:USER_SGPR: 6
; COMPUTE_PGM_RSRC2:TRAP_HANDLER: 0
; COMPUTE_PGM_RSRC2:TGID_X_EN: 1
; COMPUTE_PGM_RSRC2:TGID_Y_EN: 0
; COMPUTE_PGM_RSRC2:TGID_Z_EN: 0
; COMPUTE_PGM_RSRC2:TIDIG_COMP_CNT: 0
; COMPUTE_PGM_RSRC3_GFX90A:ACCUM_OFFSET: 3
; COMPUTE_PGM_RSRC3_GFX90A:TG_SPLIT: 0
	.section	.text._ZN4vllm25fused_add_rms_norm_kernelIN3c108BFloat16ELi0EEENSt9enable_ifIXooeqT0_Li0Entsr12_typeConvertIT_EE6existsEvE4typeEPS4_lS7_PKS4_fii,"axG",@progbits,_ZN4vllm25fused_add_rms_norm_kernelIN3c108BFloat16ELi0EEENSt9enable_ifIXooeqT0_Li0Entsr12_typeConvertIT_EE6existsEvE4typeEPS4_lS7_PKS4_fii,comdat
	.protected	_ZN4vllm25fused_add_rms_norm_kernelIN3c108BFloat16ELi0EEENSt9enable_ifIXooeqT0_Li0Entsr12_typeConvertIT_EE6existsEvE4typeEPS4_lS7_PKS4_fii ; -- Begin function _ZN4vllm25fused_add_rms_norm_kernelIN3c108BFloat16ELi0EEENSt9enable_ifIXooeqT0_Li0Entsr12_typeConvertIT_EE6existsEvE4typeEPS4_lS7_PKS4_fii
	.globl	_ZN4vllm25fused_add_rms_norm_kernelIN3c108BFloat16ELi0EEENSt9enable_ifIXooeqT0_Li0Entsr12_typeConvertIT_EE6existsEvE4typeEPS4_lS7_PKS4_fii
	.p2align	8
	.type	_ZN4vllm25fused_add_rms_norm_kernelIN3c108BFloat16ELi0EEENSt9enable_ifIXooeqT0_Li0Entsr12_typeConvertIT_EE6existsEvE4typeEPS4_lS7_PKS4_fii,@function
_ZN4vllm25fused_add_rms_norm_kernelIN3c108BFloat16ELi0EEENSt9enable_ifIXooeqT0_Li0Entsr12_typeConvertIT_EE6existsEvE4typeEPS4_lS7_PKS4_fii: ; @_ZN4vllm25fused_add_rms_norm_kernelIN3c108BFloat16ELi0EEENSt9enable_ifIXooeqT0_Li0Entsr12_typeConvertIT_EE6existsEvE4typeEPS4_lS7_PKS4_fii
; %bb.0:
	s_load_dword s16, s[4:5], 0x28
	s_load_dwordx4 s[8:11], s[4:5], 0x0
	s_load_dwordx2 s[12:13], s[4:5], 0x10
                                        ; implicit-def: $sgpr17
                                        ; implicit-def: $sgpr7
	s_waitcnt lgkmcnt(0)
	v_cmp_gt_i32_e64 s[0:1], s16, v0
	v_cmp_le_i32_e32 vcc, s16, v0
	s_and_saveexec_b64 s[2:3], vcc
	s_xor_b64 s[2:3], exec, s[2:3]
	s_cbranch_execz .LBB50_2
; %bb.1:
	s_load_dword s7, s[4:5], 0x3c
	s_mov_b32 s17, 0
	s_waitcnt lgkmcnt(0)
	s_and_b32 s7, s7, 0xffff
.LBB50_2:
	s_or_saveexec_b64 s[2:3], s[2:3]
	s_load_dwordx2 s[14:15], s[4:5], 0x18
	v_mov_b32_e32 v6, s17
	v_mov_b32_e32 v4, s7
	s_mul_i32 s17, s6, s16
	s_mul_i32 s18, s6, s11
	s_mul_hi_u32 s19, s6, s10
	s_mul_i32 s6, s6, s10
	s_xor_b64 exec, exec, s[2:3]
	s_cbranch_execz .LBB50_6
; %bb.3:
	s_load_dword s21, s[4:5], 0x3c
	s_add_i32 s7, s19, s18
	s_lshl_b64 s[10:11], s[6:7], 1
	s_add_u32 s20, s8, s10
	s_addc_u32 s22, s9, s11
	s_waitcnt lgkmcnt(0)
	s_and_b32 s7, s21, 0xffff
	s_mov_b64 s[10:11], 0
	v_mov_b32_e32 v3, 0
	v_mov_b32_e32 v1, s22
	;; [unrolled: 1-line block ×3, first 2 shown]
	s_movk_i32 s21, 0x7fff
	v_mov_b32_e32 v8, 0x7fc0
	v_mov_b32_e32 v6, 0
	;; [unrolled: 1-line block ×3, first 2 shown]
.LBB50_4:                               ; =>This Inner Loop Header: Depth=1
	v_ashrrev_i32_e32 v5, 31, v4
	v_lshlrev_b64 v[10:11], 1, v[4:5]
	v_add_co_u32_e32 v10, vcc, s20, v10
	v_add_u32_e32 v2, s17, v4
	v_addc_co_u32_e32 v11, vcc, v1, v11, vcc
	v_lshlrev_b64 v[12:13], 1, v[2:3]
	v_add_co_u32_e32 v12, vcc, s12, v12
	v_addc_co_u32_e32 v13, vcc, v7, v13, vcc
	global_load_ushort v2, v[12:13], off
	global_load_ushort v5, v[10:11], off
	v_add_u32_e32 v4, s7, v4
	v_cmp_le_i32_e32 vcc, s16, v4
	s_or_b64 s[10:11], vcc, s[10:11]
	s_waitcnt vmcnt(1)
	v_lshlrev_b32_e32 v2, 16, v2
	s_waitcnt vmcnt(0)
	v_lshlrev_b32_e32 v5, 16, v5
	v_add_f32_e32 v2, v2, v5
	v_bfe_u32 v5, v2, 16, 1
	v_add3_u32 v5, v2, v5, s21
	v_lshrrev_b32_e32 v5, 16, v5
	v_cmp_o_f32_e32 vcc, v2, v2
	v_cndmask_b32_e32 v2, v8, v5, vcc
	v_lshlrev_b32_e32 v5, 16, v2
	v_fmac_f32_e32 v6, v5, v5
	global_store_short v[12:13], v2, off
	s_andn2_b64 exec, exec, s[10:11]
	s_cbranch_execnz .LBB50_4
; %bb.5:
	s_or_b64 exec, exec, s[10:11]
	v_mov_b32_e32 v4, s7
.LBB50_6:
	s_or_b64 exec, exec, s[2:3]
	v_mbcnt_lo_u32_b32 v1, -1, 0
	v_mbcnt_hi_u32_b32 v1, -1, v1
	v_and_b32_e32 v2, 63, v1
	v_cmp_ne_u32_e32 vcc, 63, v2
	v_addc_co_u32_e32 v3, vcc, 0, v1, vcc
	v_lshlrev_b32_e32 v3, 2, v3
	ds_bpermute_b32 v3, v3, v6
	v_and_b32_e32 v5, 0x3c0, v0
	v_sub_u32_e64 v5, v4, v5 clamp
	v_add_u32_e32 v7, 1, v1
	v_cmp_lt_u32_e32 vcc, v7, v5
	s_waitcnt lgkmcnt(0)
	v_add_f32_e32 v3, v6, v3
	v_cndmask_b32_e32 v3, v6, v3, vcc
	v_cmp_gt_u32_e32 vcc, 62, v2
	v_cndmask_b32_e64 v6, 0, 1, vcc
	v_lshlrev_b32_e32 v6, 1, v6
	v_add_lshl_u32 v6, v6, v1, 2
	ds_bpermute_b32 v6, v6, v3
	v_add_u32_e32 v7, 2, v1
	v_cmp_lt_u32_e32 vcc, v7, v5
	v_add_u32_e32 v7, 4, v1
	s_waitcnt lgkmcnt(0)
	v_add_f32_e32 v6, v3, v6
	v_cndmask_b32_e32 v3, v3, v6, vcc
	v_cmp_gt_u32_e32 vcc, 60, v2
	v_cndmask_b32_e64 v6, 0, 1, vcc
	v_lshlrev_b32_e32 v6, 2, v6
	v_add_lshl_u32 v6, v6, v1, 2
	ds_bpermute_b32 v6, v6, v3
	v_cmp_lt_u32_e32 vcc, v7, v5
	v_add_u32_e32 v7, 8, v1
	s_waitcnt lgkmcnt(0)
	v_add_f32_e32 v6, v3, v6
	v_cndmask_b32_e32 v3, v3, v6, vcc
	v_cmp_gt_u32_e32 vcc, 56, v2
	v_cndmask_b32_e64 v6, 0, 1, vcc
	v_lshlrev_b32_e32 v6, 3, v6
	v_add_lshl_u32 v6, v6, v1, 2
	ds_bpermute_b32 v6, v6, v3
	;; [unrolled: 10-line block ×3, first 2 shown]
	v_cmp_lt_u32_e32 vcc, v7, v5
	s_waitcnt lgkmcnt(0)
	v_add_f32_e32 v6, v3, v6
	v_cndmask_b32_e32 v3, v3, v6, vcc
	v_cmp_gt_u32_e32 vcc, 32, v2
	v_cndmask_b32_e64 v2, 0, 1, vcc
	v_lshlrev_b32_e32 v2, 5, v2
	v_add_lshl_u32 v2, v2, v1, 2
	ds_bpermute_b32 v2, v2, v3
	v_add_u32_e32 v6, 32, v1
	v_cmp_lt_u32_e32 vcc, v6, v5
	s_waitcnt lgkmcnt(0)
	v_add_f32_e32 v2, v3, v2
	v_cndmask_b32_e32 v2, v3, v2, vcc
	v_cmp_eq_u32_e32 vcc, 0, v1
	s_and_saveexec_b64 s[2:3], vcc
	s_cbranch_execz .LBB50_8
; %bb.7:
	v_lshrrev_b32_e32 v3, 4, v0
	v_and_b32_e32 v3, 60, v3
	ds_write_b32 v3, v2
.LBB50_8:
	s_or_b64 exec, exec, s[2:3]
	v_cmp_gt_u32_e32 vcc, 16, v0
	s_waitcnt lgkmcnt(0)
	s_barrier
	s_and_saveexec_b64 s[10:11], vcc
	s_cbranch_execz .LBB50_10
; %bb.9:
	v_lshlrev_b32_e32 v2, 2, v1
	ds_read_b32 v2, v2
	v_and_b32_e32 v3, 15, v1
	v_cmp_ne_u32_e32 vcc, 15, v3
	v_addc_co_u32_e32 v5, vcc, 0, v1, vcc
	v_lshlrev_b32_e32 v5, 2, v5
	s_waitcnt lgkmcnt(0)
	ds_bpermute_b32 v5, v5, v2
	v_add_u32_e32 v6, 63, v4
	v_lshrrev_b32_e32 v6, 6, v6
	v_add_u32_e32 v7, 1, v3
	v_cmp_gt_u32_e64 s[2:3], 14, v3
	v_cmp_lt_u32_e32 vcc, v7, v6
	v_cndmask_b32_e64 v7, 0, 1, s[2:3]
	s_waitcnt lgkmcnt(0)
	v_add_f32_e32 v5, v2, v5
	v_lshlrev_b32_e32 v7, 1, v7
	v_cndmask_b32_e32 v5, v2, v5, vcc
	v_add_lshl_u32 v7, v7, v1, 2
	ds_bpermute_b32 v7, v7, v5
	v_add_u32_e32 v8, 2, v3
	v_cmp_lt_u32_e64 s[2:3], v8, v6
	v_add_u32_e32 v8, 4, v3
	s_waitcnt lgkmcnt(0)
	v_add_f32_e32 v7, v5, v7
	v_cndmask_b32_e64 v5, v5, v7, s[2:3]
	v_cmp_gt_u32_e64 s[2:3], 12, v3
	v_cndmask_b32_e64 v7, 0, 1, s[2:3]
	v_lshlrev_b32_e32 v7, 2, v7
	v_add_lshl_u32 v7, v7, v1, 2
	ds_bpermute_b32 v7, v7, v5
	v_cmp_lt_u32_e64 s[2:3], v8, v6
	s_waitcnt lgkmcnt(0)
	v_add_f32_e32 v7, v5, v7
	v_cndmask_b32_e64 v5, v5, v7, s[2:3]
	v_cmp_gt_u32_e64 s[2:3], 8, v3
	v_cndmask_b32_e64 v7, 0, 1, s[2:3]
	v_lshlrev_b32_e32 v7, 3, v7
	v_add_lshl_u32 v1, v7, v1, 2
	ds_bpermute_b32 v1, v1, v5
	v_add_u32_e32 v3, 8, v3
	v_cmp_lt_u32_e64 s[2:3], v3, v6
	s_waitcnt lgkmcnt(0)
	v_add_f32_e32 v1, v5, v1
	v_cndmask_b32_e64 v1, v5, v1, s[2:3]
	v_cndmask_b32_e32 v2, v2, v1, vcc
.LBB50_10:
	s_or_b64 exec, exec, s[10:11]
	v_cmp_eq_u32_e32 vcc, 0, v0
	s_and_saveexec_b64 s[2:3], vcc
	s_cbranch_execz .LBB50_12
; %bb.11:
	v_cvt_f32_i32_e32 v1, s16
	s_load_dword s7, s[4:5], 0x20
	v_div_scale_f32 v3, s[4:5], v1, v1, v2
	v_rcp_f32_e32 v5, v3
	v_div_scale_f32 v6, vcc, v2, v1, v2
	s_mov_b32 s4, 0x800000
	v_fma_f32 v7, -v3, v5, 1.0
	v_fmac_f32_e32 v5, v7, v5
	v_mul_f32_e32 v7, v6, v5
	v_fma_f32 v8, -v3, v7, v6
	v_fmac_f32_e32 v7, v8, v5
	v_fma_f32 v3, -v3, v7, v6
	v_div_fmas_f32 v3, v3, v5, v7
	v_div_fixup_f32 v1, v3, v1, v2
	s_waitcnt lgkmcnt(0)
	v_add_f32_e32 v1, s7, v1
	v_mul_f32_e32 v2, 0x4b800000, v1
	v_cmp_gt_f32_e32 vcc, s4, v1
	v_cndmask_b32_e32 v1, v1, v2, vcc
	v_rsq_f32_e32 v1, v1
	v_mul_f32_e32 v2, 0x45800000, v1
	v_cndmask_b32_e32 v1, v1, v2, vcc
	v_mov_b32_e32 v2, 0
	ds_write_b32 v2, v1 offset:64
.LBB50_12:
	s_or_b64 exec, exec, s[2:3]
	s_waitcnt lgkmcnt(0)
	s_barrier
	s_and_saveexec_b64 s[2:3], s[0:1]
	s_cbranch_execz .LBB50_15
; %bb.13:
	v_mov_b32_e32 v3, 0
	ds_read_b32 v5, v3 offset:64
	s_add_i32 s7, s19, s18
	s_lshl_b64 s[0:1], s[6:7], 1
	s_add_u32 s2, s8, s0
	s_addc_u32 s4, s9, s1
	s_mov_b64 s[0:1], 0
	v_mov_b32_e32 v6, s13
	s_movk_i32 s3, 0x7fff
	v_mov_b32_e32 v7, s15
	v_mov_b32_e32 v8, 0x7fc00000
	;; [unrolled: 1-line block ×4, first 2 shown]
.LBB50_14:                              ; =>This Inner Loop Header: Depth=1
	v_add_u32_e32 v2, s17, v0
	v_lshlrev_b64 v[12:13], 1, v[2:3]
	v_ashrrev_i32_e32 v1, 31, v0
	v_add_co_u32_e32 v12, vcc, s12, v12
	v_lshlrev_b64 v[14:15], 1, v[0:1]
	v_addc_co_u32_e32 v13, vcc, v6, v13, vcc
	v_add_co_u32_e32 v16, vcc, s14, v14
	v_addc_co_u32_e32 v17, vcc, v7, v15, vcc
	global_load_ushort v1, v[12:13], off
	global_load_ushort v2, v[16:17], off
	v_add_co_u32_e32 v12, vcc, s2, v14
	v_add_u32_e32 v0, v0, v4
	v_addc_co_u32_e32 v13, vcc, v10, v15, vcc
	v_cmp_le_i32_e32 vcc, s16, v0
	s_or_b64 s[0:1], vcc, s[0:1]
	s_waitcnt vmcnt(1)
	v_lshlrev_b32_e32 v1, 16, v1
	s_waitcnt lgkmcnt(0)
	v_mul_f32_e32 v1, v5, v1
	v_bfe_u32 v11, v1, 16, 1
	v_add3_u32 v11, v1, v11, s3
	v_and_b32_e32 v11, 0xffff0000, v11
	v_cmp_o_f32_e32 vcc, v1, v1
	s_waitcnt vmcnt(0)
	v_lshlrev_b32_e32 v2, 16, v2
	v_cndmask_b32_e32 v1, v8, v11, vcc
	v_mul_f32_e32 v1, v1, v2
	v_bfe_u32 v2, v1, 16, 1
	v_add3_u32 v2, v1, v2, s3
	v_lshrrev_b32_e32 v2, 16, v2
	v_cmp_o_f32_e32 vcc, v1, v1
	v_cndmask_b32_e32 v1, v9, v2, vcc
	global_store_short v[12:13], v1, off
	s_andn2_b64 exec, exec, s[0:1]
	s_cbranch_execnz .LBB50_14
.LBB50_15:
	s_endpgm
	.section	.rodata,"a",@progbits
	.p2align	6, 0x0
	.amdhsa_kernel _ZN4vllm25fused_add_rms_norm_kernelIN3c108BFloat16ELi0EEENSt9enable_ifIXooeqT0_Li0Entsr12_typeConvertIT_EE6existsEvE4typeEPS4_lS7_PKS4_fii
		.amdhsa_group_segment_fixed_size 68
		.amdhsa_private_segment_fixed_size 0
		.amdhsa_kernarg_size 304
		.amdhsa_user_sgpr_count 6
		.amdhsa_user_sgpr_private_segment_buffer 1
		.amdhsa_user_sgpr_dispatch_ptr 0
		.amdhsa_user_sgpr_queue_ptr 0
		.amdhsa_user_sgpr_kernarg_segment_ptr 1
		.amdhsa_user_sgpr_dispatch_id 0
		.amdhsa_user_sgpr_flat_scratch_init 0
		.amdhsa_user_sgpr_kernarg_preload_length 0
		.amdhsa_user_sgpr_kernarg_preload_offset 0
		.amdhsa_user_sgpr_private_segment_size 0
		.amdhsa_uses_dynamic_stack 0
		.amdhsa_system_sgpr_private_segment_wavefront_offset 0
		.amdhsa_system_sgpr_workgroup_id_x 1
		.amdhsa_system_sgpr_workgroup_id_y 0
		.amdhsa_system_sgpr_workgroup_id_z 0
		.amdhsa_system_sgpr_workgroup_info 0
		.amdhsa_system_vgpr_workitem_id 0
		.amdhsa_next_free_vgpr 18
		.amdhsa_next_free_sgpr 23
		.amdhsa_accum_offset 20
		.amdhsa_reserve_vcc 1
		.amdhsa_reserve_flat_scratch 0
		.amdhsa_float_round_mode_32 0
		.amdhsa_float_round_mode_16_64 0
		.amdhsa_float_denorm_mode_32 3
		.amdhsa_float_denorm_mode_16_64 3
		.amdhsa_dx10_clamp 1
		.amdhsa_ieee_mode 1
		.amdhsa_fp16_overflow 0
		.amdhsa_tg_split 0
		.amdhsa_exception_fp_ieee_invalid_op 0
		.amdhsa_exception_fp_denorm_src 0
		.amdhsa_exception_fp_ieee_div_zero 0
		.amdhsa_exception_fp_ieee_overflow 0
		.amdhsa_exception_fp_ieee_underflow 0
		.amdhsa_exception_fp_ieee_inexact 0
		.amdhsa_exception_int_div_zero 0
	.end_amdhsa_kernel
	.section	.text._ZN4vllm25fused_add_rms_norm_kernelIN3c108BFloat16ELi0EEENSt9enable_ifIXooeqT0_Li0Entsr12_typeConvertIT_EE6existsEvE4typeEPS4_lS7_PKS4_fii,"axG",@progbits,_ZN4vllm25fused_add_rms_norm_kernelIN3c108BFloat16ELi0EEENSt9enable_ifIXooeqT0_Li0Entsr12_typeConvertIT_EE6existsEvE4typeEPS4_lS7_PKS4_fii,comdat
.Lfunc_end50:
	.size	_ZN4vllm25fused_add_rms_norm_kernelIN3c108BFloat16ELi0EEENSt9enable_ifIXooeqT0_Li0Entsr12_typeConvertIT_EE6existsEvE4typeEPS4_lS7_PKS4_fii, .Lfunc_end50-_ZN4vllm25fused_add_rms_norm_kernelIN3c108BFloat16ELi0EEENSt9enable_ifIXooeqT0_Li0Entsr12_typeConvertIT_EE6existsEvE4typeEPS4_lS7_PKS4_fii
                                        ; -- End function
	.section	.AMDGPU.csdata,"",@progbits
; Kernel info:
; codeLenInByte = 1424
; NumSgprs: 27
; NumVgprs: 18
; NumAgprs: 0
; TotalNumVgprs: 18
; ScratchSize: 0
; MemoryBound: 0
; FloatMode: 240
; IeeeMode: 1
; LDSByteSize: 68 bytes/workgroup (compile time only)
; SGPRBlocks: 3
; VGPRBlocks: 2
; NumSGPRsForWavesPerEU: 27
; NumVGPRsForWavesPerEU: 18
; AccumOffset: 20
; Occupancy: 8
; WaveLimiterHint : 0
; COMPUTE_PGM_RSRC2:SCRATCH_EN: 0
; COMPUTE_PGM_RSRC2:USER_SGPR: 6
; COMPUTE_PGM_RSRC2:TRAP_HANDLER: 0
; COMPUTE_PGM_RSRC2:TGID_X_EN: 1
; COMPUTE_PGM_RSRC2:TGID_Y_EN: 0
; COMPUTE_PGM_RSRC2:TGID_Z_EN: 0
; COMPUTE_PGM_RSRC2:TIDIG_COMP_CNT: 0
; COMPUTE_PGM_RSRC3_GFX90A:ACCUM_OFFSET: 4
; COMPUTE_PGM_RSRC3_GFX90A:TG_SPLIT: 0
	.text
	.p2alignl 6, 3212836864
	.fill 256, 4, 3212836864
	.type	__hip_cuid_efe57c0f1fa57904,@object ; @__hip_cuid_efe57c0f1fa57904
	.section	.bss,"aw",@nobits
	.globl	__hip_cuid_efe57c0f1fa57904
__hip_cuid_efe57c0f1fa57904:
	.byte	0                               ; 0x0
	.size	__hip_cuid_efe57c0f1fa57904, 1

	.ident	"AMD clang version 19.0.0git (https://github.com/RadeonOpenCompute/llvm-project roc-6.4.0 25133 c7fe45cf4b819c5991fe208aaa96edf142730f1d)"
	.section	".note.GNU-stack","",@progbits
	.addrsig
	.addrsig_sym __hip_cuid_efe57c0f1fa57904
	.amdgpu_metadata
---
amdhsa.kernels:
  - .agpr_count:     0
    .args:
      - .actual_access:  write_only
        .address_space:  global
        .offset:         0
        .size:           8
        .value_kind:     global_buffer
      - .address_space:  global
        .offset:         8
        .size:           8
        .value_kind:     global_buffer
      - .offset:         16
        .size:           8
        .value_kind:     by_value
      - .offset:         24
        .size:           8
        .value_kind:     by_value
      - .offset:         32
        .size:           8
        .value_kind:     by_value
      - .offset:         40
        .size:           8
        .value_kind:     by_value
      - .offset:         48
        .size:           8
        .value_kind:     by_value
      - .actual_access:  read_only
        .address_space:  global
        .offset:         56
        .size:           8
        .value_kind:     global_buffer
      - .offset:         64
        .size:           4
        .value_kind:     by_value
      - .offset:         68
        .size:           4
        .value_kind:     by_value
      - .offset:         72
        .size:           4
        .value_kind:     by_value
      - .offset:         80
        .size:           4
        .value_kind:     hidden_block_count_x
      - .offset:         84
        .size:           4
        .value_kind:     hidden_block_count_y
      - .offset:         88
        .size:           4
        .value_kind:     hidden_block_count_z
      - .offset:         92
        .size:           2
        .value_kind:     hidden_group_size_x
      - .offset:         94
        .size:           2
        .value_kind:     hidden_group_size_y
      - .offset:         96
        .size:           2
        .value_kind:     hidden_group_size_z
      - .offset:         98
        .size:           2
        .value_kind:     hidden_remainder_x
      - .offset:         100
        .size:           2
        .value_kind:     hidden_remainder_y
      - .offset:         102
        .size:           2
        .value_kind:     hidden_remainder_z
      - .offset:         120
        .size:           8
        .value_kind:     hidden_global_offset_x
      - .offset:         128
        .size:           8
        .value_kind:     hidden_global_offset_y
      - .offset:         136
        .size:           8
        .value_kind:     hidden_global_offset_z
      - .offset:         144
        .size:           2
        .value_kind:     hidden_grid_dims
    .group_segment_fixed_size: 68
    .kernarg_segment_align: 8
    .kernarg_segment_size: 336
    .language:       OpenCL C
    .language_version:
      - 2
      - 0
    .max_flat_workgroup_size: 1024
    .name:           _ZN4vllm15rms_norm_kernelIfLi16ELi2EEEvPT_PKS1_lllllS4_fii
    .private_segment_fixed_size: 0
    .sgpr_count:     25
    .sgpr_spill_count: 0
    .symbol:         _ZN4vllm15rms_norm_kernelIfLi16ELi2EEEvPT_PKS1_lllllS4_fii.kd
    .uniform_work_group_size: 1
    .uses_dynamic_stack: false
    .vgpr_count:     86
    .vgpr_spill_count: 0
    .wavefront_size: 64
  - .agpr_count:     0
    .args:
      - .actual_access:  write_only
        .address_space:  global
        .offset:         0
        .size:           8
        .value_kind:     global_buffer
      - .address_space:  global
        .offset:         8
        .size:           8
        .value_kind:     global_buffer
      - .offset:         16
        .size:           8
        .value_kind:     by_value
      - .offset:         24
        .size:           8
        .value_kind:     by_value
      - .offset:         32
        .size:           8
        .value_kind:     by_value
      - .offset:         40
        .size:           8
        .value_kind:     by_value
      - .offset:         48
        .size:           8
        .value_kind:     by_value
      - .actual_access:  read_only
        .address_space:  global
        .offset:         56
        .size:           8
        .value_kind:     global_buffer
      - .offset:         64
        .size:           4
        .value_kind:     by_value
      - .offset:         68
        .size:           4
        .value_kind:     by_value
      - .offset:         72
        .size:           4
        .value_kind:     by_value
      - .offset:         80
        .size:           4
        .value_kind:     hidden_block_count_x
      - .offset:         84
        .size:           4
        .value_kind:     hidden_block_count_y
      - .offset:         88
        .size:           4
        .value_kind:     hidden_block_count_z
      - .offset:         92
        .size:           2
        .value_kind:     hidden_group_size_x
      - .offset:         94
        .size:           2
        .value_kind:     hidden_group_size_y
      - .offset:         96
        .size:           2
        .value_kind:     hidden_group_size_z
      - .offset:         98
        .size:           2
        .value_kind:     hidden_remainder_x
      - .offset:         100
        .size:           2
        .value_kind:     hidden_remainder_y
      - .offset:         102
        .size:           2
        .value_kind:     hidden_remainder_z
      - .offset:         120
        .size:           8
        .value_kind:     hidden_global_offset_x
      - .offset:         128
        .size:           8
        .value_kind:     hidden_global_offset_y
      - .offset:         136
        .size:           8
        .value_kind:     hidden_global_offset_z
      - .offset:         144
        .size:           2
        .value_kind:     hidden_grid_dims
    .group_segment_fixed_size: 68
    .kernarg_segment_align: 8
    .kernarg_segment_size: 336
    .language:       OpenCL C
    .language_version:
      - 2
      - 0
    .max_flat_workgroup_size: 1024
    .name:           _ZN4vllm15rms_norm_kernelIfLi8ELi2EEEvPT_PKS1_lllllS4_fii
    .private_segment_fixed_size: 0
    .sgpr_count:     25
    .sgpr_spill_count: 0
    .symbol:         _ZN4vllm15rms_norm_kernelIfLi8ELi2EEEvPT_PKS1_lllllS4_fii.kd
    .uniform_work_group_size: 1
    .uses_dynamic_stack: false
    .vgpr_count:     54
    .vgpr_spill_count: 0
    .wavefront_size: 64
  - .agpr_count:     0
    .args:
      - .actual_access:  write_only
        .address_space:  global
        .offset:         0
        .size:           8
        .value_kind:     global_buffer
      - .address_space:  global
        .offset:         8
        .size:           8
        .value_kind:     global_buffer
      - .offset:         16
        .size:           8
        .value_kind:     by_value
      - .offset:         24
        .size:           8
        .value_kind:     by_value
      - .offset:         32
        .size:           8
        .value_kind:     by_value
      - .offset:         40
        .size:           8
        .value_kind:     by_value
      - .offset:         48
        .size:           8
        .value_kind:     by_value
      - .actual_access:  read_only
        .address_space:  global
        .offset:         56
        .size:           8
        .value_kind:     global_buffer
      - .offset:         64
        .size:           4
        .value_kind:     by_value
      - .offset:         68
        .size:           4
        .value_kind:     by_value
      - .offset:         72
        .size:           4
        .value_kind:     by_value
      - .offset:         80
        .size:           4
        .value_kind:     hidden_block_count_x
      - .offset:         84
        .size:           4
        .value_kind:     hidden_block_count_y
      - .offset:         88
        .size:           4
        .value_kind:     hidden_block_count_z
      - .offset:         92
        .size:           2
        .value_kind:     hidden_group_size_x
      - .offset:         94
        .size:           2
        .value_kind:     hidden_group_size_y
      - .offset:         96
        .size:           2
        .value_kind:     hidden_group_size_z
      - .offset:         98
        .size:           2
        .value_kind:     hidden_remainder_x
      - .offset:         100
        .size:           2
        .value_kind:     hidden_remainder_y
      - .offset:         102
        .size:           2
        .value_kind:     hidden_remainder_z
      - .offset:         120
        .size:           8
        .value_kind:     hidden_global_offset_x
      - .offset:         128
        .size:           8
        .value_kind:     hidden_global_offset_y
      - .offset:         136
        .size:           8
        .value_kind:     hidden_global_offset_z
      - .offset:         144
        .size:           2
        .value_kind:     hidden_grid_dims
    .group_segment_fixed_size: 68
    .kernarg_segment_align: 8
    .kernarg_segment_size: 336
    .language:       OpenCL C
    .language_version:
      - 2
      - 0
    .max_flat_workgroup_size: 1024
    .name:           _ZN4vllm15rms_norm_kernelIfLi4ELi2EEEvPT_PKS1_lllllS4_fii
    .private_segment_fixed_size: 0
    .sgpr_count:     25
    .sgpr_spill_count: 0
    .symbol:         _ZN4vllm15rms_norm_kernelIfLi4ELi2EEEvPT_PKS1_lllllS4_fii.kd
    .uniform_work_group_size: 1
    .uses_dynamic_stack: false
    .vgpr_count:     38
    .vgpr_spill_count: 0
    .wavefront_size: 64
  - .agpr_count:     0
    .args:
      - .actual_access:  write_only
        .address_space:  global
        .offset:         0
        .size:           8
        .value_kind:     global_buffer
      - .address_space:  global
        .offset:         8
        .size:           8
        .value_kind:     global_buffer
      - .offset:         16
        .size:           8
        .value_kind:     by_value
      - .offset:         24
        .size:           8
        .value_kind:     by_value
      - .offset:         32
        .size:           8
        .value_kind:     by_value
      - .offset:         40
        .size:           8
        .value_kind:     by_value
      - .offset:         48
        .size:           8
        .value_kind:     by_value
      - .actual_access:  read_only
        .address_space:  global
        .offset:         56
        .size:           8
        .value_kind:     global_buffer
      - .offset:         64
        .size:           4
        .value_kind:     by_value
      - .offset:         68
        .size:           4
        .value_kind:     by_value
      - .offset:         72
        .size:           4
        .value_kind:     by_value
      - .offset:         80
        .size:           4
        .value_kind:     hidden_block_count_x
      - .offset:         84
        .size:           4
        .value_kind:     hidden_block_count_y
      - .offset:         88
        .size:           4
        .value_kind:     hidden_block_count_z
      - .offset:         92
        .size:           2
        .value_kind:     hidden_group_size_x
      - .offset:         94
        .size:           2
        .value_kind:     hidden_group_size_y
      - .offset:         96
        .size:           2
        .value_kind:     hidden_group_size_z
      - .offset:         98
        .size:           2
        .value_kind:     hidden_remainder_x
      - .offset:         100
        .size:           2
        .value_kind:     hidden_remainder_y
      - .offset:         102
        .size:           2
        .value_kind:     hidden_remainder_z
      - .offset:         120
        .size:           8
        .value_kind:     hidden_global_offset_x
      - .offset:         128
        .size:           8
        .value_kind:     hidden_global_offset_y
      - .offset:         136
        .size:           8
        .value_kind:     hidden_global_offset_z
      - .offset:         144
        .size:           2
        .value_kind:     hidden_grid_dims
    .group_segment_fixed_size: 68
    .kernarg_segment_align: 8
    .kernarg_segment_size: 336
    .language:       OpenCL C
    .language_version:
      - 2
      - 0
    .max_flat_workgroup_size: 1024
    .name:           _ZN4vllm15rms_norm_kernelIfLi2ELi2EEEvPT_PKS1_lllllS4_fii
    .private_segment_fixed_size: 0
    .sgpr_count:     25
    .sgpr_spill_count: 0
    .symbol:         _ZN4vllm15rms_norm_kernelIfLi2ELi2EEEvPT_PKS1_lllllS4_fii.kd
    .uniform_work_group_size: 1
    .uses_dynamic_stack: false
    .vgpr_count:     34
    .vgpr_spill_count: 0
    .wavefront_size: 64
  - .agpr_count:     0
    .args:
      - .actual_access:  write_only
        .address_space:  global
        .offset:         0
        .size:           8
        .value_kind:     global_buffer
      - .address_space:  global
        .offset:         8
        .size:           8
        .value_kind:     global_buffer
      - .offset:         16
        .size:           8
        .value_kind:     by_value
      - .offset:         24
        .size:           8
        .value_kind:     by_value
      - .offset:         32
        .size:           8
        .value_kind:     by_value
      - .offset:         40
        .size:           8
        .value_kind:     by_value
      - .offset:         48
        .size:           8
        .value_kind:     by_value
      - .actual_access:  read_only
        .address_space:  global
        .offset:         56
        .size:           8
        .value_kind:     global_buffer
      - .offset:         64
        .size:           4
        .value_kind:     by_value
      - .offset:         68
        .size:           4
        .value_kind:     by_value
      - .offset:         72
        .size:           4
        .value_kind:     by_value
      - .offset:         80
        .size:           4
        .value_kind:     hidden_block_count_x
      - .offset:         84
        .size:           4
        .value_kind:     hidden_block_count_y
      - .offset:         88
        .size:           4
        .value_kind:     hidden_block_count_z
      - .offset:         92
        .size:           2
        .value_kind:     hidden_group_size_x
      - .offset:         94
        .size:           2
        .value_kind:     hidden_group_size_y
      - .offset:         96
        .size:           2
        .value_kind:     hidden_group_size_z
      - .offset:         98
        .size:           2
        .value_kind:     hidden_remainder_x
      - .offset:         100
        .size:           2
        .value_kind:     hidden_remainder_y
      - .offset:         102
        .size:           2
        .value_kind:     hidden_remainder_z
      - .offset:         120
        .size:           8
        .value_kind:     hidden_global_offset_x
      - .offset:         128
        .size:           8
        .value_kind:     hidden_global_offset_y
      - .offset:         136
        .size:           8
        .value_kind:     hidden_global_offset_z
      - .offset:         144
        .size:           2
        .value_kind:     hidden_grid_dims
    .group_segment_fixed_size: 68
    .kernarg_segment_align: 8
    .kernarg_segment_size: 336
    .language:       OpenCL C
    .language_version:
      - 2
      - 0
    .max_flat_workgroup_size: 1024
    .name:           _ZN4vllm15rms_norm_kernelIfLi1ELi2EEEvPT_PKS1_lllllS4_fii
    .private_segment_fixed_size: 0
    .sgpr_count:     22
    .sgpr_spill_count: 0
    .symbol:         _ZN4vllm15rms_norm_kernelIfLi1ELi2EEEvPT_PKS1_lllllS4_fii.kd
    .uniform_work_group_size: 1
    .uses_dynamic_stack: false
    .vgpr_count:     10
    .vgpr_spill_count: 0
    .wavefront_size: 64
  - .agpr_count:     0
    .args:
      - .actual_access:  write_only
        .address_space:  global
        .offset:         0
        .size:           8
        .value_kind:     global_buffer
      - .address_space:  global
        .offset:         8
        .size:           8
        .value_kind:     global_buffer
      - .offset:         16
        .size:           8
        .value_kind:     by_value
      - .offset:         24
        .size:           8
        .value_kind:     by_value
      - .offset:         32
        .size:           8
        .value_kind:     by_value
      - .offset:         40
        .size:           8
        .value_kind:     by_value
      - .offset:         48
        .size:           8
        .value_kind:     by_value
      - .actual_access:  read_only
        .address_space:  global
        .offset:         56
        .size:           8
        .value_kind:     global_buffer
      - .offset:         64
        .size:           4
        .value_kind:     by_value
      - .offset:         68
        .size:           4
        .value_kind:     by_value
      - .offset:         72
        .size:           4
        .value_kind:     by_value
      - .offset:         80
        .size:           4
        .value_kind:     hidden_block_count_x
      - .offset:         84
        .size:           4
        .value_kind:     hidden_block_count_y
      - .offset:         88
        .size:           4
        .value_kind:     hidden_block_count_z
      - .offset:         92
        .size:           2
        .value_kind:     hidden_group_size_x
      - .offset:         94
        .size:           2
        .value_kind:     hidden_group_size_y
      - .offset:         96
        .size:           2
        .value_kind:     hidden_group_size_z
      - .offset:         98
        .size:           2
        .value_kind:     hidden_remainder_x
      - .offset:         100
        .size:           2
        .value_kind:     hidden_remainder_y
      - .offset:         102
        .size:           2
        .value_kind:     hidden_remainder_z
      - .offset:         120
        .size:           8
        .value_kind:     hidden_global_offset_x
      - .offset:         128
        .size:           8
        .value_kind:     hidden_global_offset_y
      - .offset:         136
        .size:           8
        .value_kind:     hidden_global_offset_z
      - .offset:         144
        .size:           2
        .value_kind:     hidden_grid_dims
    .group_segment_fixed_size: 68
    .kernarg_segment_align: 8
    .kernarg_segment_size: 336
    .language:       OpenCL C
    .language_version:
      - 2
      - 0
    .max_flat_workgroup_size: 1024
    .name:           _ZN4vllm15rms_norm_kernelIN3c104HalfELi16ELi2EEEvPT_PKS3_lllllS6_fii
    .private_segment_fixed_size: 0
    .sgpr_count:     25
    .sgpr_spill_count: 0
    .symbol:         _ZN4vllm15rms_norm_kernelIN3c104HalfELi16ELi2EEEvPT_PKS3_lllllS6_fii.kd
    .uniform_work_group_size: 1
    .uses_dynamic_stack: false
    .vgpr_count:     34
    .vgpr_spill_count: 0
    .wavefront_size: 64
  - .agpr_count:     0
    .args:
      - .actual_access:  write_only
        .address_space:  global
        .offset:         0
        .size:           8
        .value_kind:     global_buffer
      - .address_space:  global
        .offset:         8
        .size:           8
        .value_kind:     global_buffer
      - .offset:         16
        .size:           8
        .value_kind:     by_value
      - .offset:         24
        .size:           8
        .value_kind:     by_value
      - .offset:         32
        .size:           8
        .value_kind:     by_value
      - .offset:         40
        .size:           8
        .value_kind:     by_value
      - .offset:         48
        .size:           8
        .value_kind:     by_value
      - .actual_access:  read_only
        .address_space:  global
        .offset:         56
        .size:           8
        .value_kind:     global_buffer
      - .offset:         64
        .size:           4
        .value_kind:     by_value
      - .offset:         68
        .size:           4
        .value_kind:     by_value
      - .offset:         72
        .size:           4
        .value_kind:     by_value
      - .offset:         80
        .size:           4
        .value_kind:     hidden_block_count_x
      - .offset:         84
        .size:           4
        .value_kind:     hidden_block_count_y
      - .offset:         88
        .size:           4
        .value_kind:     hidden_block_count_z
      - .offset:         92
        .size:           2
        .value_kind:     hidden_group_size_x
      - .offset:         94
        .size:           2
        .value_kind:     hidden_group_size_y
      - .offset:         96
        .size:           2
        .value_kind:     hidden_group_size_z
      - .offset:         98
        .size:           2
        .value_kind:     hidden_remainder_x
      - .offset:         100
        .size:           2
        .value_kind:     hidden_remainder_y
      - .offset:         102
        .size:           2
        .value_kind:     hidden_remainder_z
      - .offset:         120
        .size:           8
        .value_kind:     hidden_global_offset_x
      - .offset:         128
        .size:           8
        .value_kind:     hidden_global_offset_y
      - .offset:         136
        .size:           8
        .value_kind:     hidden_global_offset_z
      - .offset:         144
        .size:           2
        .value_kind:     hidden_grid_dims
    .group_segment_fixed_size: 68
    .kernarg_segment_align: 8
    .kernarg_segment_size: 336
    .language:       OpenCL C
    .language_version:
      - 2
      - 0
    .max_flat_workgroup_size: 1024
    .name:           _ZN4vllm15rms_norm_kernelIN3c104HalfELi8ELi2EEEvPT_PKS3_lllllS6_fii
    .private_segment_fixed_size: 0
    .sgpr_count:     23
    .sgpr_spill_count: 0
    .symbol:         _ZN4vllm15rms_norm_kernelIN3c104HalfELi8ELi2EEEvPT_PKS3_lllllS6_fii.kd
    .uniform_work_group_size: 1
    .uses_dynamic_stack: false
    .vgpr_count:     28
    .vgpr_spill_count: 0
    .wavefront_size: 64
  - .agpr_count:     0
    .args:
      - .actual_access:  write_only
        .address_space:  global
        .offset:         0
        .size:           8
        .value_kind:     global_buffer
      - .address_space:  global
        .offset:         8
        .size:           8
        .value_kind:     global_buffer
      - .offset:         16
        .size:           8
        .value_kind:     by_value
      - .offset:         24
        .size:           8
        .value_kind:     by_value
      - .offset:         32
        .size:           8
        .value_kind:     by_value
      - .offset:         40
        .size:           8
        .value_kind:     by_value
      - .offset:         48
        .size:           8
        .value_kind:     by_value
      - .actual_access:  read_only
        .address_space:  global
        .offset:         56
        .size:           8
        .value_kind:     global_buffer
      - .offset:         64
        .size:           4
        .value_kind:     by_value
      - .offset:         68
        .size:           4
        .value_kind:     by_value
      - .offset:         72
        .size:           4
        .value_kind:     by_value
      - .offset:         80
        .size:           4
        .value_kind:     hidden_block_count_x
      - .offset:         84
        .size:           4
        .value_kind:     hidden_block_count_y
      - .offset:         88
        .size:           4
        .value_kind:     hidden_block_count_z
      - .offset:         92
        .size:           2
        .value_kind:     hidden_group_size_x
      - .offset:         94
        .size:           2
        .value_kind:     hidden_group_size_y
      - .offset:         96
        .size:           2
        .value_kind:     hidden_group_size_z
      - .offset:         98
        .size:           2
        .value_kind:     hidden_remainder_x
      - .offset:         100
        .size:           2
        .value_kind:     hidden_remainder_y
      - .offset:         102
        .size:           2
        .value_kind:     hidden_remainder_z
      - .offset:         120
        .size:           8
        .value_kind:     hidden_global_offset_x
      - .offset:         128
        .size:           8
        .value_kind:     hidden_global_offset_y
      - .offset:         136
        .size:           8
        .value_kind:     hidden_global_offset_z
      - .offset:         144
        .size:           2
        .value_kind:     hidden_grid_dims
    .group_segment_fixed_size: 68
    .kernarg_segment_align: 8
    .kernarg_segment_size: 336
    .language:       OpenCL C
    .language_version:
      - 2
      - 0
    .max_flat_workgroup_size: 1024
    .name:           _ZN4vllm15rms_norm_kernelIN3c104HalfELi4ELi2EEEvPT_PKS3_lllllS6_fii
    .private_segment_fixed_size: 0
    .sgpr_count:     25
    .sgpr_spill_count: 0
    .symbol:         _ZN4vllm15rms_norm_kernelIN3c104HalfELi4ELi2EEEvPT_PKS3_lllllS6_fii.kd
    .uniform_work_group_size: 1
    .uses_dynamic_stack: false
    .vgpr_count:     22
    .vgpr_spill_count: 0
    .wavefront_size: 64
  - .agpr_count:     0
    .args:
      - .actual_access:  write_only
        .address_space:  global
        .offset:         0
        .size:           8
        .value_kind:     global_buffer
      - .address_space:  global
        .offset:         8
        .size:           8
        .value_kind:     global_buffer
      - .offset:         16
        .size:           8
        .value_kind:     by_value
      - .offset:         24
        .size:           8
        .value_kind:     by_value
      - .offset:         32
        .size:           8
        .value_kind:     by_value
      - .offset:         40
        .size:           8
        .value_kind:     by_value
      - .offset:         48
        .size:           8
        .value_kind:     by_value
      - .actual_access:  read_only
        .address_space:  global
        .offset:         56
        .size:           8
        .value_kind:     global_buffer
      - .offset:         64
        .size:           4
        .value_kind:     by_value
      - .offset:         68
        .size:           4
        .value_kind:     by_value
      - .offset:         72
        .size:           4
        .value_kind:     by_value
      - .offset:         80
        .size:           4
        .value_kind:     hidden_block_count_x
      - .offset:         84
        .size:           4
        .value_kind:     hidden_block_count_y
      - .offset:         88
        .size:           4
        .value_kind:     hidden_block_count_z
      - .offset:         92
        .size:           2
        .value_kind:     hidden_group_size_x
      - .offset:         94
        .size:           2
        .value_kind:     hidden_group_size_y
      - .offset:         96
        .size:           2
        .value_kind:     hidden_group_size_z
      - .offset:         98
        .size:           2
        .value_kind:     hidden_remainder_x
      - .offset:         100
        .size:           2
        .value_kind:     hidden_remainder_y
      - .offset:         102
        .size:           2
        .value_kind:     hidden_remainder_z
      - .offset:         120
        .size:           8
        .value_kind:     hidden_global_offset_x
      - .offset:         128
        .size:           8
        .value_kind:     hidden_global_offset_y
      - .offset:         136
        .size:           8
        .value_kind:     hidden_global_offset_z
      - .offset:         144
        .size:           2
        .value_kind:     hidden_grid_dims
    .group_segment_fixed_size: 68
    .kernarg_segment_align: 8
    .kernarg_segment_size: 336
    .language:       OpenCL C
    .language_version:
      - 2
      - 0
    .max_flat_workgroup_size: 1024
    .name:           _ZN4vllm15rms_norm_kernelIN3c104HalfELi2ELi2EEEvPT_PKS3_lllllS6_fii
    .private_segment_fixed_size: 0
    .sgpr_count:     25
    .sgpr_spill_count: 0
    .symbol:         _ZN4vllm15rms_norm_kernelIN3c104HalfELi2ELi2EEEvPT_PKS3_lllllS6_fii.kd
    .uniform_work_group_size: 1
    .uses_dynamic_stack: false
    .vgpr_count:     28
    .vgpr_spill_count: 0
    .wavefront_size: 64
  - .agpr_count:     0
    .args:
      - .actual_access:  write_only
        .address_space:  global
        .offset:         0
        .size:           8
        .value_kind:     global_buffer
      - .address_space:  global
        .offset:         8
        .size:           8
        .value_kind:     global_buffer
      - .offset:         16
        .size:           8
        .value_kind:     by_value
      - .offset:         24
        .size:           8
        .value_kind:     by_value
      - .offset:         32
        .size:           8
        .value_kind:     by_value
      - .offset:         40
        .size:           8
        .value_kind:     by_value
      - .offset:         48
        .size:           8
        .value_kind:     by_value
      - .actual_access:  read_only
        .address_space:  global
        .offset:         56
        .size:           8
        .value_kind:     global_buffer
      - .offset:         64
        .size:           4
        .value_kind:     by_value
      - .offset:         68
        .size:           4
        .value_kind:     by_value
      - .offset:         72
        .size:           4
        .value_kind:     by_value
      - .offset:         80
        .size:           4
        .value_kind:     hidden_block_count_x
      - .offset:         84
        .size:           4
        .value_kind:     hidden_block_count_y
      - .offset:         88
        .size:           4
        .value_kind:     hidden_block_count_z
      - .offset:         92
        .size:           2
        .value_kind:     hidden_group_size_x
      - .offset:         94
        .size:           2
        .value_kind:     hidden_group_size_y
      - .offset:         96
        .size:           2
        .value_kind:     hidden_group_size_z
      - .offset:         98
        .size:           2
        .value_kind:     hidden_remainder_x
      - .offset:         100
        .size:           2
        .value_kind:     hidden_remainder_y
      - .offset:         102
        .size:           2
        .value_kind:     hidden_remainder_z
      - .offset:         120
        .size:           8
        .value_kind:     hidden_global_offset_x
      - .offset:         128
        .size:           8
        .value_kind:     hidden_global_offset_y
      - .offset:         136
        .size:           8
        .value_kind:     hidden_global_offset_z
      - .offset:         144
        .size:           2
        .value_kind:     hidden_grid_dims
    .group_segment_fixed_size: 68
    .kernarg_segment_align: 8
    .kernarg_segment_size: 336
    .language:       OpenCL C
    .language_version:
      - 2
      - 0
    .max_flat_workgroup_size: 1024
    .name:           _ZN4vllm15rms_norm_kernelIN3c104HalfELi1ELi2EEEvPT_PKS3_lllllS6_fii
    .private_segment_fixed_size: 0
    .sgpr_count:     22
    .sgpr_spill_count: 0
    .symbol:         _ZN4vllm15rms_norm_kernelIN3c104HalfELi1ELi2EEEvPT_PKS3_lllllS6_fii.kd
    .uniform_work_group_size: 1
    .uses_dynamic_stack: false
    .vgpr_count:     10
    .vgpr_spill_count: 0
    .wavefront_size: 64
  - .agpr_count:     0
    .args:
      - .actual_access:  write_only
        .address_space:  global
        .offset:         0
        .size:           8
        .value_kind:     global_buffer
      - .address_space:  global
        .offset:         8
        .size:           8
        .value_kind:     global_buffer
      - .offset:         16
        .size:           8
        .value_kind:     by_value
      - .offset:         24
        .size:           8
        .value_kind:     by_value
      - .offset:         32
        .size:           8
        .value_kind:     by_value
      - .offset:         40
        .size:           8
        .value_kind:     by_value
      - .offset:         48
        .size:           8
        .value_kind:     by_value
      - .actual_access:  read_only
        .address_space:  global
        .offset:         56
        .size:           8
        .value_kind:     global_buffer
      - .offset:         64
        .size:           4
        .value_kind:     by_value
      - .offset:         68
        .size:           4
        .value_kind:     by_value
      - .offset:         72
        .size:           4
        .value_kind:     by_value
      - .offset:         80
        .size:           4
        .value_kind:     hidden_block_count_x
      - .offset:         84
        .size:           4
        .value_kind:     hidden_block_count_y
      - .offset:         88
        .size:           4
        .value_kind:     hidden_block_count_z
      - .offset:         92
        .size:           2
        .value_kind:     hidden_group_size_x
      - .offset:         94
        .size:           2
        .value_kind:     hidden_group_size_y
      - .offset:         96
        .size:           2
        .value_kind:     hidden_group_size_z
      - .offset:         98
        .size:           2
        .value_kind:     hidden_remainder_x
      - .offset:         100
        .size:           2
        .value_kind:     hidden_remainder_y
      - .offset:         102
        .size:           2
        .value_kind:     hidden_remainder_z
      - .offset:         120
        .size:           8
        .value_kind:     hidden_global_offset_x
      - .offset:         128
        .size:           8
        .value_kind:     hidden_global_offset_y
      - .offset:         136
        .size:           8
        .value_kind:     hidden_global_offset_z
      - .offset:         144
        .size:           2
        .value_kind:     hidden_grid_dims
    .group_segment_fixed_size: 68
    .kernarg_segment_align: 8
    .kernarg_segment_size: 336
    .language:       OpenCL C
    .language_version:
      - 2
      - 0
    .max_flat_workgroup_size: 1024
    .name:           _ZN4vllm15rms_norm_kernelIN3c108BFloat16ELi16ELi2EEEvPT_PKS3_lllllS6_fii
    .private_segment_fixed_size: 0
    .sgpr_count:     48
    .sgpr_spill_count: 0
    .symbol:         _ZN4vllm15rms_norm_kernelIN3c108BFloat16ELi16ELi2EEEvPT_PKS3_lllllS6_fii.kd
    .uniform_work_group_size: 1
    .uses_dynamic_stack: false
    .vgpr_count:     59
    .vgpr_spill_count: 0
    .wavefront_size: 64
  - .agpr_count:     0
    .args:
      - .actual_access:  write_only
        .address_space:  global
        .offset:         0
        .size:           8
        .value_kind:     global_buffer
      - .address_space:  global
        .offset:         8
        .size:           8
        .value_kind:     global_buffer
      - .offset:         16
        .size:           8
        .value_kind:     by_value
      - .offset:         24
        .size:           8
        .value_kind:     by_value
      - .offset:         32
        .size:           8
        .value_kind:     by_value
      - .offset:         40
        .size:           8
        .value_kind:     by_value
      - .offset:         48
        .size:           8
        .value_kind:     by_value
      - .actual_access:  read_only
        .address_space:  global
        .offset:         56
        .size:           8
        .value_kind:     global_buffer
      - .offset:         64
        .size:           4
        .value_kind:     by_value
      - .offset:         68
        .size:           4
        .value_kind:     by_value
      - .offset:         72
        .size:           4
        .value_kind:     by_value
      - .offset:         80
        .size:           4
        .value_kind:     hidden_block_count_x
      - .offset:         84
        .size:           4
        .value_kind:     hidden_block_count_y
      - .offset:         88
        .size:           4
        .value_kind:     hidden_block_count_z
      - .offset:         92
        .size:           2
        .value_kind:     hidden_group_size_x
      - .offset:         94
        .size:           2
        .value_kind:     hidden_group_size_y
      - .offset:         96
        .size:           2
        .value_kind:     hidden_group_size_z
      - .offset:         98
        .size:           2
        .value_kind:     hidden_remainder_x
      - .offset:         100
        .size:           2
        .value_kind:     hidden_remainder_y
      - .offset:         102
        .size:           2
        .value_kind:     hidden_remainder_z
      - .offset:         120
        .size:           8
        .value_kind:     hidden_global_offset_x
      - .offset:         128
        .size:           8
        .value_kind:     hidden_global_offset_y
      - .offset:         136
        .size:           8
        .value_kind:     hidden_global_offset_z
      - .offset:         144
        .size:           2
        .value_kind:     hidden_grid_dims
    .group_segment_fixed_size: 68
    .kernarg_segment_align: 8
    .kernarg_segment_size: 336
    .language:       OpenCL C
    .language_version:
      - 2
      - 0
    .max_flat_workgroup_size: 1024
    .name:           _ZN4vllm15rms_norm_kernelIN3c108BFloat16ELi8ELi2EEEvPT_PKS3_lllllS6_fii
    .private_segment_fixed_size: 0
    .sgpr_count:     52
    .sgpr_spill_count: 0
    .symbol:         _ZN4vllm15rms_norm_kernelIN3c108BFloat16ELi8ELi2EEEvPT_PKS3_lllllS6_fii.kd
    .uniform_work_group_size: 1
    .uses_dynamic_stack: false
    .vgpr_count:     62
    .vgpr_spill_count: 0
    .wavefront_size: 64
  - .agpr_count:     0
    .args:
      - .actual_access:  write_only
        .address_space:  global
        .offset:         0
        .size:           8
        .value_kind:     global_buffer
      - .address_space:  global
        .offset:         8
        .size:           8
        .value_kind:     global_buffer
      - .offset:         16
        .size:           8
        .value_kind:     by_value
      - .offset:         24
        .size:           8
        .value_kind:     by_value
      - .offset:         32
        .size:           8
        .value_kind:     by_value
      - .offset:         40
        .size:           8
        .value_kind:     by_value
      - .offset:         48
        .size:           8
        .value_kind:     by_value
      - .actual_access:  read_only
        .address_space:  global
        .offset:         56
        .size:           8
        .value_kind:     global_buffer
      - .offset:         64
        .size:           4
        .value_kind:     by_value
      - .offset:         68
        .size:           4
        .value_kind:     by_value
      - .offset:         72
        .size:           4
        .value_kind:     by_value
      - .offset:         80
        .size:           4
        .value_kind:     hidden_block_count_x
      - .offset:         84
        .size:           4
        .value_kind:     hidden_block_count_y
      - .offset:         88
        .size:           4
        .value_kind:     hidden_block_count_z
      - .offset:         92
        .size:           2
        .value_kind:     hidden_group_size_x
      - .offset:         94
        .size:           2
        .value_kind:     hidden_group_size_y
      - .offset:         96
        .size:           2
        .value_kind:     hidden_group_size_z
      - .offset:         98
        .size:           2
        .value_kind:     hidden_remainder_x
      - .offset:         100
        .size:           2
        .value_kind:     hidden_remainder_y
      - .offset:         102
        .size:           2
        .value_kind:     hidden_remainder_z
      - .offset:         120
        .size:           8
        .value_kind:     hidden_global_offset_x
      - .offset:         128
        .size:           8
        .value_kind:     hidden_global_offset_y
      - .offset:         136
        .size:           8
        .value_kind:     hidden_global_offset_z
      - .offset:         144
        .size:           2
        .value_kind:     hidden_grid_dims
    .group_segment_fixed_size: 68
    .kernarg_segment_align: 8
    .kernarg_segment_size: 336
    .language:       OpenCL C
    .language_version:
      - 2
      - 0
    .max_flat_workgroup_size: 1024
    .name:           _ZN4vllm15rms_norm_kernelIN3c108BFloat16ELi4ELi2EEEvPT_PKS3_lllllS6_fii
    .private_segment_fixed_size: 0
    .sgpr_count:     25
    .sgpr_spill_count: 0
    .symbol:         _ZN4vllm15rms_norm_kernelIN3c108BFloat16ELi4ELi2EEEvPT_PKS3_lllllS6_fii.kd
    .uniform_work_group_size: 1
    .uses_dynamic_stack: false
    .vgpr_count:     27
    .vgpr_spill_count: 0
    .wavefront_size: 64
  - .agpr_count:     0
    .args:
      - .actual_access:  write_only
        .address_space:  global
        .offset:         0
        .size:           8
        .value_kind:     global_buffer
      - .address_space:  global
        .offset:         8
        .size:           8
        .value_kind:     global_buffer
      - .offset:         16
        .size:           8
        .value_kind:     by_value
      - .offset:         24
        .size:           8
        .value_kind:     by_value
      - .offset:         32
        .size:           8
        .value_kind:     by_value
      - .offset:         40
        .size:           8
        .value_kind:     by_value
      - .offset:         48
        .size:           8
        .value_kind:     by_value
      - .actual_access:  read_only
        .address_space:  global
        .offset:         56
        .size:           8
        .value_kind:     global_buffer
      - .offset:         64
        .size:           4
        .value_kind:     by_value
      - .offset:         68
        .size:           4
        .value_kind:     by_value
      - .offset:         72
        .size:           4
        .value_kind:     by_value
      - .offset:         80
        .size:           4
        .value_kind:     hidden_block_count_x
      - .offset:         84
        .size:           4
        .value_kind:     hidden_block_count_y
      - .offset:         88
        .size:           4
        .value_kind:     hidden_block_count_z
      - .offset:         92
        .size:           2
        .value_kind:     hidden_group_size_x
      - .offset:         94
        .size:           2
        .value_kind:     hidden_group_size_y
      - .offset:         96
        .size:           2
        .value_kind:     hidden_group_size_z
      - .offset:         98
        .size:           2
        .value_kind:     hidden_remainder_x
      - .offset:         100
        .size:           2
        .value_kind:     hidden_remainder_y
      - .offset:         102
        .size:           2
        .value_kind:     hidden_remainder_z
      - .offset:         120
        .size:           8
        .value_kind:     hidden_global_offset_x
      - .offset:         128
        .size:           8
        .value_kind:     hidden_global_offset_y
      - .offset:         136
        .size:           8
        .value_kind:     hidden_global_offset_z
      - .offset:         144
        .size:           2
        .value_kind:     hidden_grid_dims
    .group_segment_fixed_size: 68
    .kernarg_segment_align: 8
    .kernarg_segment_size: 336
    .language:       OpenCL C
    .language_version:
      - 2
      - 0
    .max_flat_workgroup_size: 1024
    .name:           _ZN4vllm15rms_norm_kernelIN3c108BFloat16ELi2ELi2EEEvPT_PKS3_lllllS6_fii
    .private_segment_fixed_size: 0
    .sgpr_count:     25
    .sgpr_spill_count: 0
    .symbol:         _ZN4vllm15rms_norm_kernelIN3c108BFloat16ELi2ELi2EEEvPT_PKS3_lllllS6_fii.kd
    .uniform_work_group_size: 1
    .uses_dynamic_stack: false
    .vgpr_count:     27
    .vgpr_spill_count: 0
    .wavefront_size: 64
  - .agpr_count:     0
    .args:
      - .actual_access:  write_only
        .address_space:  global
        .offset:         0
        .size:           8
        .value_kind:     global_buffer
      - .address_space:  global
        .offset:         8
        .size:           8
        .value_kind:     global_buffer
      - .offset:         16
        .size:           8
        .value_kind:     by_value
      - .offset:         24
        .size:           8
        .value_kind:     by_value
      - .offset:         32
        .size:           8
        .value_kind:     by_value
      - .offset:         40
        .size:           8
        .value_kind:     by_value
      - .offset:         48
        .size:           8
        .value_kind:     by_value
      - .actual_access:  read_only
        .address_space:  global
        .offset:         56
        .size:           8
        .value_kind:     global_buffer
      - .offset:         64
        .size:           4
        .value_kind:     by_value
      - .offset:         68
        .size:           4
        .value_kind:     by_value
      - .offset:         72
        .size:           4
        .value_kind:     by_value
      - .offset:         80
        .size:           4
        .value_kind:     hidden_block_count_x
      - .offset:         84
        .size:           4
        .value_kind:     hidden_block_count_y
      - .offset:         88
        .size:           4
        .value_kind:     hidden_block_count_z
      - .offset:         92
        .size:           2
        .value_kind:     hidden_group_size_x
      - .offset:         94
        .size:           2
        .value_kind:     hidden_group_size_y
      - .offset:         96
        .size:           2
        .value_kind:     hidden_group_size_z
      - .offset:         98
        .size:           2
        .value_kind:     hidden_remainder_x
      - .offset:         100
        .size:           2
        .value_kind:     hidden_remainder_y
      - .offset:         102
        .size:           2
        .value_kind:     hidden_remainder_z
      - .offset:         120
        .size:           8
        .value_kind:     hidden_global_offset_x
      - .offset:         128
        .size:           8
        .value_kind:     hidden_global_offset_y
      - .offset:         136
        .size:           8
        .value_kind:     hidden_global_offset_z
      - .offset:         144
        .size:           2
        .value_kind:     hidden_grid_dims
    .group_segment_fixed_size: 68
    .kernarg_segment_align: 8
    .kernarg_segment_size: 336
    .language:       OpenCL C
    .language_version:
      - 2
      - 0
    .max_flat_workgroup_size: 1024
    .name:           _ZN4vllm15rms_norm_kernelIN3c108BFloat16ELi1ELi2EEEvPT_PKS3_lllllS6_fii
    .private_segment_fixed_size: 0
    .sgpr_count:     22
    .sgpr_spill_count: 0
    .symbol:         _ZN4vllm15rms_norm_kernelIN3c108BFloat16ELi1ELi2EEEvPT_PKS3_lllllS6_fii.kd
    .uniform_work_group_size: 1
    .uses_dynamic_stack: false
    .vgpr_count:     15
    .vgpr_spill_count: 0
    .wavefront_size: 64
  - .agpr_count:     0
    .args:
      - .actual_access:  write_only
        .address_space:  global
        .offset:         0
        .size:           8
        .value_kind:     global_buffer
      - .address_space:  global
        .offset:         8
        .size:           8
        .value_kind:     global_buffer
      - .offset:         16
        .size:           8
        .value_kind:     by_value
      - .offset:         24
        .size:           8
        .value_kind:     by_value
      - .offset:         32
        .size:           8
        .value_kind:     by_value
      - .offset:         40
        .size:           8
        .value_kind:     by_value
      - .offset:         48
        .size:           8
        .value_kind:     by_value
      - .actual_access:  read_only
        .address_space:  global
        .offset:         56
        .size:           8
        .value_kind:     global_buffer
      - .offset:         64
        .size:           4
        .value_kind:     by_value
      - .offset:         68
        .size:           4
        .value_kind:     by_value
      - .offset:         72
        .size:           4
        .value_kind:     by_value
      - .offset:         80
        .size:           4
        .value_kind:     hidden_block_count_x
      - .offset:         84
        .size:           4
        .value_kind:     hidden_block_count_y
      - .offset:         88
        .size:           4
        .value_kind:     hidden_block_count_z
      - .offset:         92
        .size:           2
        .value_kind:     hidden_group_size_x
      - .offset:         94
        .size:           2
        .value_kind:     hidden_group_size_y
      - .offset:         96
        .size:           2
        .value_kind:     hidden_group_size_z
      - .offset:         98
        .size:           2
        .value_kind:     hidden_remainder_x
      - .offset:         100
        .size:           2
        .value_kind:     hidden_remainder_y
      - .offset:         102
        .size:           2
        .value_kind:     hidden_remainder_z
      - .offset:         120
        .size:           8
        .value_kind:     hidden_global_offset_x
      - .offset:         128
        .size:           8
        .value_kind:     hidden_global_offset_y
      - .offset:         136
        .size:           8
        .value_kind:     hidden_global_offset_z
      - .offset:         144
        .size:           2
        .value_kind:     hidden_grid_dims
    .group_segment_fixed_size: 68
    .kernarg_segment_align: 8
    .kernarg_segment_size: 336
    .language:       OpenCL C
    .language_version:
      - 2
      - 0
    .max_flat_workgroup_size: 1024
    .name:           _ZN4vllm15rms_norm_kernelIfLi16ELi3EEEvPT_PKS1_lllllS4_fii
    .private_segment_fixed_size: 0
    .sgpr_count:     28
    .sgpr_spill_count: 0
    .symbol:         _ZN4vllm15rms_norm_kernelIfLi16ELi3EEEvPT_PKS1_lllllS4_fii.kd
    .uniform_work_group_size: 1
    .uses_dynamic_stack: false
    .vgpr_count:     86
    .vgpr_spill_count: 0
    .wavefront_size: 64
  - .agpr_count:     0
    .args:
      - .actual_access:  write_only
        .address_space:  global
        .offset:         0
        .size:           8
        .value_kind:     global_buffer
      - .address_space:  global
        .offset:         8
        .size:           8
        .value_kind:     global_buffer
      - .offset:         16
        .size:           8
        .value_kind:     by_value
      - .offset:         24
        .size:           8
        .value_kind:     by_value
      - .offset:         32
        .size:           8
        .value_kind:     by_value
      - .offset:         40
        .size:           8
        .value_kind:     by_value
      - .offset:         48
        .size:           8
        .value_kind:     by_value
      - .actual_access:  read_only
        .address_space:  global
        .offset:         56
        .size:           8
        .value_kind:     global_buffer
      - .offset:         64
        .size:           4
        .value_kind:     by_value
      - .offset:         68
        .size:           4
        .value_kind:     by_value
      - .offset:         72
        .size:           4
        .value_kind:     by_value
      - .offset:         80
        .size:           4
        .value_kind:     hidden_block_count_x
      - .offset:         84
        .size:           4
        .value_kind:     hidden_block_count_y
      - .offset:         88
        .size:           4
        .value_kind:     hidden_block_count_z
      - .offset:         92
        .size:           2
        .value_kind:     hidden_group_size_x
      - .offset:         94
        .size:           2
        .value_kind:     hidden_group_size_y
      - .offset:         96
        .size:           2
        .value_kind:     hidden_group_size_z
      - .offset:         98
        .size:           2
        .value_kind:     hidden_remainder_x
      - .offset:         100
        .size:           2
        .value_kind:     hidden_remainder_y
      - .offset:         102
        .size:           2
        .value_kind:     hidden_remainder_z
      - .offset:         120
        .size:           8
        .value_kind:     hidden_global_offset_x
      - .offset:         128
        .size:           8
        .value_kind:     hidden_global_offset_y
      - .offset:         136
        .size:           8
        .value_kind:     hidden_global_offset_z
      - .offset:         144
        .size:           2
        .value_kind:     hidden_grid_dims
    .group_segment_fixed_size: 68
    .kernarg_segment_align: 8
    .kernarg_segment_size: 336
    .language:       OpenCL C
    .language_version:
      - 2
      - 0
    .max_flat_workgroup_size: 1024
    .name:           _ZN4vllm15rms_norm_kernelIfLi8ELi3EEEvPT_PKS1_lllllS4_fii
    .private_segment_fixed_size: 0
    .sgpr_count:     28
    .sgpr_spill_count: 0
    .symbol:         _ZN4vllm15rms_norm_kernelIfLi8ELi3EEEvPT_PKS1_lllllS4_fii.kd
    .uniform_work_group_size: 1
    .uses_dynamic_stack: false
    .vgpr_count:     54
    .vgpr_spill_count: 0
    .wavefront_size: 64
  - .agpr_count:     0
    .args:
      - .actual_access:  write_only
        .address_space:  global
        .offset:         0
        .size:           8
        .value_kind:     global_buffer
      - .address_space:  global
        .offset:         8
        .size:           8
        .value_kind:     global_buffer
      - .offset:         16
        .size:           8
        .value_kind:     by_value
      - .offset:         24
        .size:           8
        .value_kind:     by_value
      - .offset:         32
        .size:           8
        .value_kind:     by_value
      - .offset:         40
        .size:           8
        .value_kind:     by_value
      - .offset:         48
        .size:           8
        .value_kind:     by_value
      - .actual_access:  read_only
        .address_space:  global
        .offset:         56
        .size:           8
        .value_kind:     global_buffer
      - .offset:         64
        .size:           4
        .value_kind:     by_value
      - .offset:         68
        .size:           4
        .value_kind:     by_value
      - .offset:         72
        .size:           4
        .value_kind:     by_value
      - .offset:         80
        .size:           4
        .value_kind:     hidden_block_count_x
      - .offset:         84
        .size:           4
        .value_kind:     hidden_block_count_y
      - .offset:         88
        .size:           4
        .value_kind:     hidden_block_count_z
      - .offset:         92
        .size:           2
        .value_kind:     hidden_group_size_x
      - .offset:         94
        .size:           2
        .value_kind:     hidden_group_size_y
      - .offset:         96
        .size:           2
        .value_kind:     hidden_group_size_z
      - .offset:         98
        .size:           2
        .value_kind:     hidden_remainder_x
      - .offset:         100
        .size:           2
        .value_kind:     hidden_remainder_y
      - .offset:         102
        .size:           2
        .value_kind:     hidden_remainder_z
      - .offset:         120
        .size:           8
        .value_kind:     hidden_global_offset_x
      - .offset:         128
        .size:           8
        .value_kind:     hidden_global_offset_y
      - .offset:         136
        .size:           8
        .value_kind:     hidden_global_offset_z
      - .offset:         144
        .size:           2
        .value_kind:     hidden_grid_dims
    .group_segment_fixed_size: 68
    .kernarg_segment_align: 8
    .kernarg_segment_size: 336
    .language:       OpenCL C
    .language_version:
      - 2
      - 0
    .max_flat_workgroup_size: 1024
    .name:           _ZN4vllm15rms_norm_kernelIfLi4ELi3EEEvPT_PKS1_lllllS4_fii
    .private_segment_fixed_size: 0
    .sgpr_count:     29
    .sgpr_spill_count: 0
    .symbol:         _ZN4vllm15rms_norm_kernelIfLi4ELi3EEEvPT_PKS1_lllllS4_fii.kd
    .uniform_work_group_size: 1
    .uses_dynamic_stack: false
    .vgpr_count:     38
    .vgpr_spill_count: 0
    .wavefront_size: 64
  - .agpr_count:     0
    .args:
      - .actual_access:  write_only
        .address_space:  global
        .offset:         0
        .size:           8
        .value_kind:     global_buffer
      - .address_space:  global
        .offset:         8
        .size:           8
        .value_kind:     global_buffer
      - .offset:         16
        .size:           8
        .value_kind:     by_value
      - .offset:         24
        .size:           8
        .value_kind:     by_value
      - .offset:         32
        .size:           8
        .value_kind:     by_value
      - .offset:         40
        .size:           8
        .value_kind:     by_value
      - .offset:         48
        .size:           8
        .value_kind:     by_value
      - .actual_access:  read_only
        .address_space:  global
        .offset:         56
        .size:           8
        .value_kind:     global_buffer
      - .offset:         64
        .size:           4
        .value_kind:     by_value
      - .offset:         68
        .size:           4
        .value_kind:     by_value
      - .offset:         72
        .size:           4
        .value_kind:     by_value
      - .offset:         80
        .size:           4
        .value_kind:     hidden_block_count_x
      - .offset:         84
        .size:           4
        .value_kind:     hidden_block_count_y
      - .offset:         88
        .size:           4
        .value_kind:     hidden_block_count_z
      - .offset:         92
        .size:           2
        .value_kind:     hidden_group_size_x
      - .offset:         94
        .size:           2
        .value_kind:     hidden_group_size_y
      - .offset:         96
        .size:           2
        .value_kind:     hidden_group_size_z
      - .offset:         98
        .size:           2
        .value_kind:     hidden_remainder_x
      - .offset:         100
        .size:           2
        .value_kind:     hidden_remainder_y
      - .offset:         102
        .size:           2
        .value_kind:     hidden_remainder_z
      - .offset:         120
        .size:           8
        .value_kind:     hidden_global_offset_x
      - .offset:         128
        .size:           8
        .value_kind:     hidden_global_offset_y
      - .offset:         136
        .size:           8
        .value_kind:     hidden_global_offset_z
      - .offset:         144
        .size:           2
        .value_kind:     hidden_grid_dims
    .group_segment_fixed_size: 68
    .kernarg_segment_align: 8
    .kernarg_segment_size: 336
    .language:       OpenCL C
    .language_version:
      - 2
      - 0
    .max_flat_workgroup_size: 1024
    .name:           _ZN4vllm15rms_norm_kernelIfLi2ELi3EEEvPT_PKS1_lllllS4_fii
    .private_segment_fixed_size: 0
    .sgpr_count:     28
    .sgpr_spill_count: 0
    .symbol:         _ZN4vllm15rms_norm_kernelIfLi2ELi3EEEvPT_PKS1_lllllS4_fii.kd
    .uniform_work_group_size: 1
    .uses_dynamic_stack: false
    .vgpr_count:     34
    .vgpr_spill_count: 0
    .wavefront_size: 64
  - .agpr_count:     0
    .args:
      - .actual_access:  write_only
        .address_space:  global
        .offset:         0
        .size:           8
        .value_kind:     global_buffer
      - .address_space:  global
        .offset:         8
        .size:           8
        .value_kind:     global_buffer
      - .offset:         16
        .size:           8
        .value_kind:     by_value
      - .offset:         24
        .size:           8
        .value_kind:     by_value
      - .offset:         32
        .size:           8
        .value_kind:     by_value
      - .offset:         40
        .size:           8
        .value_kind:     by_value
      - .offset:         48
        .size:           8
        .value_kind:     by_value
      - .actual_access:  read_only
        .address_space:  global
        .offset:         56
        .size:           8
        .value_kind:     global_buffer
      - .offset:         64
        .size:           4
        .value_kind:     by_value
      - .offset:         68
        .size:           4
        .value_kind:     by_value
      - .offset:         72
        .size:           4
        .value_kind:     by_value
      - .offset:         80
        .size:           4
        .value_kind:     hidden_block_count_x
      - .offset:         84
        .size:           4
        .value_kind:     hidden_block_count_y
      - .offset:         88
        .size:           4
        .value_kind:     hidden_block_count_z
      - .offset:         92
        .size:           2
        .value_kind:     hidden_group_size_x
      - .offset:         94
        .size:           2
        .value_kind:     hidden_group_size_y
      - .offset:         96
        .size:           2
        .value_kind:     hidden_group_size_z
      - .offset:         98
        .size:           2
        .value_kind:     hidden_remainder_x
      - .offset:         100
        .size:           2
        .value_kind:     hidden_remainder_y
      - .offset:         102
        .size:           2
        .value_kind:     hidden_remainder_z
      - .offset:         120
        .size:           8
        .value_kind:     hidden_global_offset_x
      - .offset:         128
        .size:           8
        .value_kind:     hidden_global_offset_y
      - .offset:         136
        .size:           8
        .value_kind:     hidden_global_offset_z
      - .offset:         144
        .size:           2
        .value_kind:     hidden_grid_dims
    .group_segment_fixed_size: 68
    .kernarg_segment_align: 8
    .kernarg_segment_size: 336
    .language:       OpenCL C
    .language_version:
      - 2
      - 0
    .max_flat_workgroup_size: 1024
    .name:           _ZN4vllm15rms_norm_kernelIfLi1ELi3EEEvPT_PKS1_lllllS4_fii
    .private_segment_fixed_size: 0
    .sgpr_count:     25
    .sgpr_spill_count: 0
    .symbol:         _ZN4vllm15rms_norm_kernelIfLi1ELi3EEEvPT_PKS1_lllllS4_fii.kd
    .uniform_work_group_size: 1
    .uses_dynamic_stack: false
    .vgpr_count:     10
    .vgpr_spill_count: 0
    .wavefront_size: 64
  - .agpr_count:     0
    .args:
      - .actual_access:  write_only
        .address_space:  global
        .offset:         0
        .size:           8
        .value_kind:     global_buffer
      - .address_space:  global
        .offset:         8
        .size:           8
        .value_kind:     global_buffer
      - .offset:         16
        .size:           8
        .value_kind:     by_value
      - .offset:         24
        .size:           8
        .value_kind:     by_value
      - .offset:         32
        .size:           8
        .value_kind:     by_value
      - .offset:         40
        .size:           8
        .value_kind:     by_value
      - .offset:         48
        .size:           8
        .value_kind:     by_value
      - .actual_access:  read_only
        .address_space:  global
        .offset:         56
        .size:           8
        .value_kind:     global_buffer
      - .offset:         64
        .size:           4
        .value_kind:     by_value
      - .offset:         68
        .size:           4
        .value_kind:     by_value
      - .offset:         72
        .size:           4
        .value_kind:     by_value
      - .offset:         80
        .size:           4
        .value_kind:     hidden_block_count_x
      - .offset:         84
        .size:           4
        .value_kind:     hidden_block_count_y
      - .offset:         88
        .size:           4
        .value_kind:     hidden_block_count_z
      - .offset:         92
        .size:           2
        .value_kind:     hidden_group_size_x
      - .offset:         94
        .size:           2
        .value_kind:     hidden_group_size_y
      - .offset:         96
        .size:           2
        .value_kind:     hidden_group_size_z
      - .offset:         98
        .size:           2
        .value_kind:     hidden_remainder_x
      - .offset:         100
        .size:           2
        .value_kind:     hidden_remainder_y
      - .offset:         102
        .size:           2
        .value_kind:     hidden_remainder_z
      - .offset:         120
        .size:           8
        .value_kind:     hidden_global_offset_x
      - .offset:         128
        .size:           8
        .value_kind:     hidden_global_offset_y
      - .offset:         136
        .size:           8
        .value_kind:     hidden_global_offset_z
      - .offset:         144
        .size:           2
        .value_kind:     hidden_grid_dims
    .group_segment_fixed_size: 68
    .kernarg_segment_align: 8
    .kernarg_segment_size: 336
    .language:       OpenCL C
    .language_version:
      - 2
      - 0
    .max_flat_workgroup_size: 1024
    .name:           _ZN4vllm15rms_norm_kernelIN3c104HalfELi16ELi3EEEvPT_PKS3_lllllS6_fii
    .private_segment_fixed_size: 0
    .sgpr_count:     28
    .sgpr_spill_count: 0
    .symbol:         _ZN4vllm15rms_norm_kernelIN3c104HalfELi16ELi3EEEvPT_PKS3_lllllS6_fii.kd
    .uniform_work_group_size: 1
    .uses_dynamic_stack: false
    .vgpr_count:     34
    .vgpr_spill_count: 0
    .wavefront_size: 64
  - .agpr_count:     0
    .args:
      - .actual_access:  write_only
        .address_space:  global
        .offset:         0
        .size:           8
        .value_kind:     global_buffer
      - .address_space:  global
        .offset:         8
        .size:           8
        .value_kind:     global_buffer
      - .offset:         16
        .size:           8
        .value_kind:     by_value
      - .offset:         24
        .size:           8
        .value_kind:     by_value
      - .offset:         32
        .size:           8
        .value_kind:     by_value
      - .offset:         40
        .size:           8
        .value_kind:     by_value
      - .offset:         48
        .size:           8
        .value_kind:     by_value
      - .actual_access:  read_only
        .address_space:  global
        .offset:         56
        .size:           8
        .value_kind:     global_buffer
      - .offset:         64
        .size:           4
        .value_kind:     by_value
      - .offset:         68
        .size:           4
        .value_kind:     by_value
      - .offset:         72
        .size:           4
        .value_kind:     by_value
      - .offset:         80
        .size:           4
        .value_kind:     hidden_block_count_x
      - .offset:         84
        .size:           4
        .value_kind:     hidden_block_count_y
      - .offset:         88
        .size:           4
        .value_kind:     hidden_block_count_z
      - .offset:         92
        .size:           2
        .value_kind:     hidden_group_size_x
      - .offset:         94
        .size:           2
        .value_kind:     hidden_group_size_y
      - .offset:         96
        .size:           2
        .value_kind:     hidden_group_size_z
      - .offset:         98
        .size:           2
        .value_kind:     hidden_remainder_x
      - .offset:         100
        .size:           2
        .value_kind:     hidden_remainder_y
      - .offset:         102
        .size:           2
        .value_kind:     hidden_remainder_z
      - .offset:         120
        .size:           8
        .value_kind:     hidden_global_offset_x
      - .offset:         128
        .size:           8
        .value_kind:     hidden_global_offset_y
      - .offset:         136
        .size:           8
        .value_kind:     hidden_global_offset_z
      - .offset:         144
        .size:           2
        .value_kind:     hidden_grid_dims
    .group_segment_fixed_size: 68
    .kernarg_segment_align: 8
    .kernarg_segment_size: 336
    .language:       OpenCL C
    .language_version:
      - 2
      - 0
    .max_flat_workgroup_size: 1024
    .name:           _ZN4vllm15rms_norm_kernelIN3c104HalfELi8ELi3EEEvPT_PKS3_lllllS6_fii
    .private_segment_fixed_size: 0
    .sgpr_count:     26
    .sgpr_spill_count: 0
    .symbol:         _ZN4vllm15rms_norm_kernelIN3c104HalfELi8ELi3EEEvPT_PKS3_lllllS6_fii.kd
    .uniform_work_group_size: 1
    .uses_dynamic_stack: false
    .vgpr_count:     28
    .vgpr_spill_count: 0
    .wavefront_size: 64
  - .agpr_count:     0
    .args:
      - .actual_access:  write_only
        .address_space:  global
        .offset:         0
        .size:           8
        .value_kind:     global_buffer
      - .address_space:  global
        .offset:         8
        .size:           8
        .value_kind:     global_buffer
      - .offset:         16
        .size:           8
        .value_kind:     by_value
      - .offset:         24
        .size:           8
        .value_kind:     by_value
      - .offset:         32
        .size:           8
        .value_kind:     by_value
      - .offset:         40
        .size:           8
        .value_kind:     by_value
      - .offset:         48
        .size:           8
        .value_kind:     by_value
      - .actual_access:  read_only
        .address_space:  global
        .offset:         56
        .size:           8
        .value_kind:     global_buffer
      - .offset:         64
        .size:           4
        .value_kind:     by_value
      - .offset:         68
        .size:           4
        .value_kind:     by_value
      - .offset:         72
        .size:           4
        .value_kind:     by_value
      - .offset:         80
        .size:           4
        .value_kind:     hidden_block_count_x
      - .offset:         84
        .size:           4
        .value_kind:     hidden_block_count_y
      - .offset:         88
        .size:           4
        .value_kind:     hidden_block_count_z
      - .offset:         92
        .size:           2
        .value_kind:     hidden_group_size_x
      - .offset:         94
        .size:           2
        .value_kind:     hidden_group_size_y
      - .offset:         96
        .size:           2
        .value_kind:     hidden_group_size_z
      - .offset:         98
        .size:           2
        .value_kind:     hidden_remainder_x
      - .offset:         100
        .size:           2
        .value_kind:     hidden_remainder_y
      - .offset:         102
        .size:           2
        .value_kind:     hidden_remainder_z
      - .offset:         120
        .size:           8
        .value_kind:     hidden_global_offset_x
      - .offset:         128
        .size:           8
        .value_kind:     hidden_global_offset_y
      - .offset:         136
        .size:           8
        .value_kind:     hidden_global_offset_z
      - .offset:         144
        .size:           2
        .value_kind:     hidden_grid_dims
    .group_segment_fixed_size: 68
    .kernarg_segment_align: 8
    .kernarg_segment_size: 336
    .language:       OpenCL C
    .language_version:
      - 2
      - 0
    .max_flat_workgroup_size: 1024
    .name:           _ZN4vllm15rms_norm_kernelIN3c104HalfELi4ELi3EEEvPT_PKS3_lllllS6_fii
    .private_segment_fixed_size: 0
    .sgpr_count:     28
    .sgpr_spill_count: 0
    .symbol:         _ZN4vllm15rms_norm_kernelIN3c104HalfELi4ELi3EEEvPT_PKS3_lllllS6_fii.kd
    .uniform_work_group_size: 1
    .uses_dynamic_stack: false
    .vgpr_count:     22
    .vgpr_spill_count: 0
    .wavefront_size: 64
  - .agpr_count:     0
    .args:
      - .actual_access:  write_only
        .address_space:  global
        .offset:         0
        .size:           8
        .value_kind:     global_buffer
      - .address_space:  global
        .offset:         8
        .size:           8
        .value_kind:     global_buffer
      - .offset:         16
        .size:           8
        .value_kind:     by_value
      - .offset:         24
        .size:           8
        .value_kind:     by_value
      - .offset:         32
        .size:           8
        .value_kind:     by_value
      - .offset:         40
        .size:           8
        .value_kind:     by_value
      - .offset:         48
        .size:           8
        .value_kind:     by_value
      - .actual_access:  read_only
        .address_space:  global
        .offset:         56
        .size:           8
        .value_kind:     global_buffer
      - .offset:         64
        .size:           4
        .value_kind:     by_value
      - .offset:         68
        .size:           4
        .value_kind:     by_value
      - .offset:         72
        .size:           4
        .value_kind:     by_value
      - .offset:         80
        .size:           4
        .value_kind:     hidden_block_count_x
      - .offset:         84
        .size:           4
        .value_kind:     hidden_block_count_y
      - .offset:         88
        .size:           4
        .value_kind:     hidden_block_count_z
      - .offset:         92
        .size:           2
        .value_kind:     hidden_group_size_x
      - .offset:         94
        .size:           2
        .value_kind:     hidden_group_size_y
      - .offset:         96
        .size:           2
        .value_kind:     hidden_group_size_z
      - .offset:         98
        .size:           2
        .value_kind:     hidden_remainder_x
      - .offset:         100
        .size:           2
        .value_kind:     hidden_remainder_y
      - .offset:         102
        .size:           2
        .value_kind:     hidden_remainder_z
      - .offset:         120
        .size:           8
        .value_kind:     hidden_global_offset_x
      - .offset:         128
        .size:           8
        .value_kind:     hidden_global_offset_y
      - .offset:         136
        .size:           8
        .value_kind:     hidden_global_offset_z
      - .offset:         144
        .size:           2
        .value_kind:     hidden_grid_dims
    .group_segment_fixed_size: 68
    .kernarg_segment_align: 8
    .kernarg_segment_size: 336
    .language:       OpenCL C
    .language_version:
      - 2
      - 0
    .max_flat_workgroup_size: 1024
    .name:           _ZN4vllm15rms_norm_kernelIN3c104HalfELi2ELi3EEEvPT_PKS3_lllllS6_fii
    .private_segment_fixed_size: 0
    .sgpr_count:     28
    .sgpr_spill_count: 0
    .symbol:         _ZN4vllm15rms_norm_kernelIN3c104HalfELi2ELi3EEEvPT_PKS3_lllllS6_fii.kd
    .uniform_work_group_size: 1
    .uses_dynamic_stack: false
    .vgpr_count:     28
    .vgpr_spill_count: 0
    .wavefront_size: 64
  - .agpr_count:     0
    .args:
      - .actual_access:  write_only
        .address_space:  global
        .offset:         0
        .size:           8
        .value_kind:     global_buffer
      - .address_space:  global
        .offset:         8
        .size:           8
        .value_kind:     global_buffer
      - .offset:         16
        .size:           8
        .value_kind:     by_value
      - .offset:         24
        .size:           8
        .value_kind:     by_value
      - .offset:         32
        .size:           8
        .value_kind:     by_value
      - .offset:         40
        .size:           8
        .value_kind:     by_value
      - .offset:         48
        .size:           8
        .value_kind:     by_value
      - .actual_access:  read_only
        .address_space:  global
        .offset:         56
        .size:           8
        .value_kind:     global_buffer
      - .offset:         64
        .size:           4
        .value_kind:     by_value
      - .offset:         68
        .size:           4
        .value_kind:     by_value
      - .offset:         72
        .size:           4
        .value_kind:     by_value
      - .offset:         80
        .size:           4
        .value_kind:     hidden_block_count_x
      - .offset:         84
        .size:           4
        .value_kind:     hidden_block_count_y
      - .offset:         88
        .size:           4
        .value_kind:     hidden_block_count_z
      - .offset:         92
        .size:           2
        .value_kind:     hidden_group_size_x
      - .offset:         94
        .size:           2
        .value_kind:     hidden_group_size_y
      - .offset:         96
        .size:           2
        .value_kind:     hidden_group_size_z
      - .offset:         98
        .size:           2
        .value_kind:     hidden_remainder_x
      - .offset:         100
        .size:           2
        .value_kind:     hidden_remainder_y
      - .offset:         102
        .size:           2
        .value_kind:     hidden_remainder_z
      - .offset:         120
        .size:           8
        .value_kind:     hidden_global_offset_x
      - .offset:         128
        .size:           8
        .value_kind:     hidden_global_offset_y
      - .offset:         136
        .size:           8
        .value_kind:     hidden_global_offset_z
      - .offset:         144
        .size:           2
        .value_kind:     hidden_grid_dims
    .group_segment_fixed_size: 68
    .kernarg_segment_align: 8
    .kernarg_segment_size: 336
    .language:       OpenCL C
    .language_version:
      - 2
      - 0
    .max_flat_workgroup_size: 1024
    .name:           _ZN4vllm15rms_norm_kernelIN3c104HalfELi1ELi3EEEvPT_PKS3_lllllS6_fii
    .private_segment_fixed_size: 0
    .sgpr_count:     25
    .sgpr_spill_count: 0
    .symbol:         _ZN4vllm15rms_norm_kernelIN3c104HalfELi1ELi3EEEvPT_PKS3_lllllS6_fii.kd
    .uniform_work_group_size: 1
    .uses_dynamic_stack: false
    .vgpr_count:     10
    .vgpr_spill_count: 0
    .wavefront_size: 64
  - .agpr_count:     0
    .args:
      - .actual_access:  write_only
        .address_space:  global
        .offset:         0
        .size:           8
        .value_kind:     global_buffer
      - .address_space:  global
        .offset:         8
        .size:           8
        .value_kind:     global_buffer
      - .offset:         16
        .size:           8
        .value_kind:     by_value
      - .offset:         24
        .size:           8
        .value_kind:     by_value
      - .offset:         32
        .size:           8
        .value_kind:     by_value
      - .offset:         40
        .size:           8
        .value_kind:     by_value
      - .offset:         48
        .size:           8
        .value_kind:     by_value
      - .actual_access:  read_only
        .address_space:  global
        .offset:         56
        .size:           8
        .value_kind:     global_buffer
      - .offset:         64
        .size:           4
        .value_kind:     by_value
      - .offset:         68
        .size:           4
        .value_kind:     by_value
      - .offset:         72
        .size:           4
        .value_kind:     by_value
      - .offset:         80
        .size:           4
        .value_kind:     hidden_block_count_x
      - .offset:         84
        .size:           4
        .value_kind:     hidden_block_count_y
      - .offset:         88
        .size:           4
        .value_kind:     hidden_block_count_z
      - .offset:         92
        .size:           2
        .value_kind:     hidden_group_size_x
      - .offset:         94
        .size:           2
        .value_kind:     hidden_group_size_y
      - .offset:         96
        .size:           2
        .value_kind:     hidden_group_size_z
      - .offset:         98
        .size:           2
        .value_kind:     hidden_remainder_x
      - .offset:         100
        .size:           2
        .value_kind:     hidden_remainder_y
      - .offset:         102
        .size:           2
        .value_kind:     hidden_remainder_z
      - .offset:         120
        .size:           8
        .value_kind:     hidden_global_offset_x
      - .offset:         128
        .size:           8
        .value_kind:     hidden_global_offset_y
      - .offset:         136
        .size:           8
        .value_kind:     hidden_global_offset_z
      - .offset:         144
        .size:           2
        .value_kind:     hidden_grid_dims
    .group_segment_fixed_size: 68
    .kernarg_segment_align: 8
    .kernarg_segment_size: 336
    .language:       OpenCL C
    .language_version:
      - 2
      - 0
    .max_flat_workgroup_size: 1024
    .name:           _ZN4vllm15rms_norm_kernelIN3c108BFloat16ELi16ELi3EEEvPT_PKS3_lllllS6_fii
    .private_segment_fixed_size: 0
    .sgpr_count:     48
    .sgpr_spill_count: 0
    .symbol:         _ZN4vllm15rms_norm_kernelIN3c108BFloat16ELi16ELi3EEEvPT_PKS3_lllllS6_fii.kd
    .uniform_work_group_size: 1
    .uses_dynamic_stack: false
    .vgpr_count:     59
    .vgpr_spill_count: 0
    .wavefront_size: 64
  - .agpr_count:     0
    .args:
      - .actual_access:  write_only
        .address_space:  global
        .offset:         0
        .size:           8
        .value_kind:     global_buffer
      - .address_space:  global
        .offset:         8
        .size:           8
        .value_kind:     global_buffer
      - .offset:         16
        .size:           8
        .value_kind:     by_value
      - .offset:         24
        .size:           8
        .value_kind:     by_value
      - .offset:         32
        .size:           8
        .value_kind:     by_value
      - .offset:         40
        .size:           8
        .value_kind:     by_value
      - .offset:         48
        .size:           8
        .value_kind:     by_value
      - .actual_access:  read_only
        .address_space:  global
        .offset:         56
        .size:           8
        .value_kind:     global_buffer
      - .offset:         64
        .size:           4
        .value_kind:     by_value
      - .offset:         68
        .size:           4
        .value_kind:     by_value
      - .offset:         72
        .size:           4
        .value_kind:     by_value
      - .offset:         80
        .size:           4
        .value_kind:     hidden_block_count_x
      - .offset:         84
        .size:           4
        .value_kind:     hidden_block_count_y
      - .offset:         88
        .size:           4
        .value_kind:     hidden_block_count_z
      - .offset:         92
        .size:           2
        .value_kind:     hidden_group_size_x
      - .offset:         94
        .size:           2
        .value_kind:     hidden_group_size_y
      - .offset:         96
        .size:           2
        .value_kind:     hidden_group_size_z
      - .offset:         98
        .size:           2
        .value_kind:     hidden_remainder_x
      - .offset:         100
        .size:           2
        .value_kind:     hidden_remainder_y
      - .offset:         102
        .size:           2
        .value_kind:     hidden_remainder_z
      - .offset:         120
        .size:           8
        .value_kind:     hidden_global_offset_x
      - .offset:         128
        .size:           8
        .value_kind:     hidden_global_offset_y
      - .offset:         136
        .size:           8
        .value_kind:     hidden_global_offset_z
      - .offset:         144
        .size:           2
        .value_kind:     hidden_grid_dims
    .group_segment_fixed_size: 68
    .kernarg_segment_align: 8
    .kernarg_segment_size: 336
    .language:       OpenCL C
    .language_version:
      - 2
      - 0
    .max_flat_workgroup_size: 1024
    .name:           _ZN4vllm15rms_norm_kernelIN3c108BFloat16ELi8ELi3EEEvPT_PKS3_lllllS6_fii
    .private_segment_fixed_size: 0
    .sgpr_count:     57
    .sgpr_spill_count: 0
    .symbol:         _ZN4vllm15rms_norm_kernelIN3c108BFloat16ELi8ELi3EEEvPT_PKS3_lllllS6_fii.kd
    .uniform_work_group_size: 1
    .uses_dynamic_stack: false
    .vgpr_count:     62
    .vgpr_spill_count: 0
    .wavefront_size: 64
  - .agpr_count:     0
    .args:
      - .actual_access:  write_only
        .address_space:  global
        .offset:         0
        .size:           8
        .value_kind:     global_buffer
      - .address_space:  global
        .offset:         8
        .size:           8
        .value_kind:     global_buffer
      - .offset:         16
        .size:           8
        .value_kind:     by_value
      - .offset:         24
        .size:           8
        .value_kind:     by_value
      - .offset:         32
        .size:           8
        .value_kind:     by_value
      - .offset:         40
        .size:           8
        .value_kind:     by_value
      - .offset:         48
        .size:           8
        .value_kind:     by_value
      - .actual_access:  read_only
        .address_space:  global
        .offset:         56
        .size:           8
        .value_kind:     global_buffer
      - .offset:         64
        .size:           4
        .value_kind:     by_value
      - .offset:         68
        .size:           4
        .value_kind:     by_value
      - .offset:         72
        .size:           4
        .value_kind:     by_value
      - .offset:         80
        .size:           4
        .value_kind:     hidden_block_count_x
      - .offset:         84
        .size:           4
        .value_kind:     hidden_block_count_y
      - .offset:         88
        .size:           4
        .value_kind:     hidden_block_count_z
      - .offset:         92
        .size:           2
        .value_kind:     hidden_group_size_x
      - .offset:         94
        .size:           2
        .value_kind:     hidden_group_size_y
      - .offset:         96
        .size:           2
        .value_kind:     hidden_group_size_z
      - .offset:         98
        .size:           2
        .value_kind:     hidden_remainder_x
      - .offset:         100
        .size:           2
        .value_kind:     hidden_remainder_y
      - .offset:         102
        .size:           2
        .value_kind:     hidden_remainder_z
      - .offset:         120
        .size:           8
        .value_kind:     hidden_global_offset_x
      - .offset:         128
        .size:           8
        .value_kind:     hidden_global_offset_y
      - .offset:         136
        .size:           8
        .value_kind:     hidden_global_offset_z
      - .offset:         144
        .size:           2
        .value_kind:     hidden_grid_dims
    .group_segment_fixed_size: 68
    .kernarg_segment_align: 8
    .kernarg_segment_size: 336
    .language:       OpenCL C
    .language_version:
      - 2
      - 0
    .max_flat_workgroup_size: 1024
    .name:           _ZN4vllm15rms_norm_kernelIN3c108BFloat16ELi4ELi3EEEvPT_PKS3_lllllS6_fii
    .private_segment_fixed_size: 0
    .sgpr_count:     28
    .sgpr_spill_count: 0
    .symbol:         _ZN4vllm15rms_norm_kernelIN3c108BFloat16ELi4ELi3EEEvPT_PKS3_lllllS6_fii.kd
    .uniform_work_group_size: 1
    .uses_dynamic_stack: false
    .vgpr_count:     27
    .vgpr_spill_count: 0
    .wavefront_size: 64
  - .agpr_count:     0
    .args:
      - .actual_access:  write_only
        .address_space:  global
        .offset:         0
        .size:           8
        .value_kind:     global_buffer
      - .address_space:  global
        .offset:         8
        .size:           8
        .value_kind:     global_buffer
      - .offset:         16
        .size:           8
        .value_kind:     by_value
      - .offset:         24
        .size:           8
        .value_kind:     by_value
      - .offset:         32
        .size:           8
        .value_kind:     by_value
      - .offset:         40
        .size:           8
        .value_kind:     by_value
      - .offset:         48
        .size:           8
        .value_kind:     by_value
      - .actual_access:  read_only
        .address_space:  global
        .offset:         56
        .size:           8
        .value_kind:     global_buffer
      - .offset:         64
        .size:           4
        .value_kind:     by_value
      - .offset:         68
        .size:           4
        .value_kind:     by_value
      - .offset:         72
        .size:           4
        .value_kind:     by_value
      - .offset:         80
        .size:           4
        .value_kind:     hidden_block_count_x
      - .offset:         84
        .size:           4
        .value_kind:     hidden_block_count_y
      - .offset:         88
        .size:           4
        .value_kind:     hidden_block_count_z
      - .offset:         92
        .size:           2
        .value_kind:     hidden_group_size_x
      - .offset:         94
        .size:           2
        .value_kind:     hidden_group_size_y
      - .offset:         96
        .size:           2
        .value_kind:     hidden_group_size_z
      - .offset:         98
        .size:           2
        .value_kind:     hidden_remainder_x
      - .offset:         100
        .size:           2
        .value_kind:     hidden_remainder_y
      - .offset:         102
        .size:           2
        .value_kind:     hidden_remainder_z
      - .offset:         120
        .size:           8
        .value_kind:     hidden_global_offset_x
      - .offset:         128
        .size:           8
        .value_kind:     hidden_global_offset_y
      - .offset:         136
        .size:           8
        .value_kind:     hidden_global_offset_z
      - .offset:         144
        .size:           2
        .value_kind:     hidden_grid_dims
    .group_segment_fixed_size: 68
    .kernarg_segment_align: 8
    .kernarg_segment_size: 336
    .language:       OpenCL C
    .language_version:
      - 2
      - 0
    .max_flat_workgroup_size: 1024
    .name:           _ZN4vllm15rms_norm_kernelIN3c108BFloat16ELi2ELi3EEEvPT_PKS3_lllllS6_fii
    .private_segment_fixed_size: 0
    .sgpr_count:     28
    .sgpr_spill_count: 0
    .symbol:         _ZN4vllm15rms_norm_kernelIN3c108BFloat16ELi2ELi3EEEvPT_PKS3_lllllS6_fii.kd
    .uniform_work_group_size: 1
    .uses_dynamic_stack: false
    .vgpr_count:     27
    .vgpr_spill_count: 0
    .wavefront_size: 64
  - .agpr_count:     0
    .args:
      - .actual_access:  write_only
        .address_space:  global
        .offset:         0
        .size:           8
        .value_kind:     global_buffer
      - .address_space:  global
        .offset:         8
        .size:           8
        .value_kind:     global_buffer
      - .offset:         16
        .size:           8
        .value_kind:     by_value
      - .offset:         24
        .size:           8
        .value_kind:     by_value
      - .offset:         32
        .size:           8
        .value_kind:     by_value
      - .offset:         40
        .size:           8
        .value_kind:     by_value
      - .offset:         48
        .size:           8
        .value_kind:     by_value
      - .actual_access:  read_only
        .address_space:  global
        .offset:         56
        .size:           8
        .value_kind:     global_buffer
      - .offset:         64
        .size:           4
        .value_kind:     by_value
      - .offset:         68
        .size:           4
        .value_kind:     by_value
      - .offset:         72
        .size:           4
        .value_kind:     by_value
      - .offset:         80
        .size:           4
        .value_kind:     hidden_block_count_x
      - .offset:         84
        .size:           4
        .value_kind:     hidden_block_count_y
      - .offset:         88
        .size:           4
        .value_kind:     hidden_block_count_z
      - .offset:         92
        .size:           2
        .value_kind:     hidden_group_size_x
      - .offset:         94
        .size:           2
        .value_kind:     hidden_group_size_y
      - .offset:         96
        .size:           2
        .value_kind:     hidden_group_size_z
      - .offset:         98
        .size:           2
        .value_kind:     hidden_remainder_x
      - .offset:         100
        .size:           2
        .value_kind:     hidden_remainder_y
      - .offset:         102
        .size:           2
        .value_kind:     hidden_remainder_z
      - .offset:         120
        .size:           8
        .value_kind:     hidden_global_offset_x
      - .offset:         128
        .size:           8
        .value_kind:     hidden_global_offset_y
      - .offset:         136
        .size:           8
        .value_kind:     hidden_global_offset_z
      - .offset:         144
        .size:           2
        .value_kind:     hidden_grid_dims
    .group_segment_fixed_size: 68
    .kernarg_segment_align: 8
    .kernarg_segment_size: 336
    .language:       OpenCL C
    .language_version:
      - 2
      - 0
    .max_flat_workgroup_size: 1024
    .name:           _ZN4vllm15rms_norm_kernelIN3c108BFloat16ELi1ELi3EEEvPT_PKS3_lllllS6_fii
    .private_segment_fixed_size: 0
    .sgpr_count:     25
    .sgpr_spill_count: 0
    .symbol:         _ZN4vllm15rms_norm_kernelIN3c108BFloat16ELi1ELi3EEEvPT_PKS3_lllllS6_fii.kd
    .uniform_work_group_size: 1
    .uses_dynamic_stack: false
    .vgpr_count:     15
    .vgpr_spill_count: 0
    .wavefront_size: 64
  - .agpr_count:     0
    .args:
      - .actual_access:  write_only
        .address_space:  global
        .offset:         0
        .size:           8
        .value_kind:     global_buffer
      - .address_space:  global
        .offset:         8
        .size:           8
        .value_kind:     global_buffer
      - .offset:         16
        .size:           8
        .value_kind:     by_value
      - .offset:         24
        .size:           8
        .value_kind:     by_value
      - .offset:         32
        .size:           8
        .value_kind:     by_value
      - .offset:         40
        .size:           8
        .value_kind:     by_value
      - .offset:         48
        .size:           8
        .value_kind:     by_value
      - .actual_access:  read_only
        .address_space:  global
        .offset:         56
        .size:           8
        .value_kind:     global_buffer
      - .offset:         64
        .size:           4
        .value_kind:     by_value
      - .offset:         68
        .size:           4
        .value_kind:     by_value
      - .offset:         72
        .size:           4
        .value_kind:     by_value
      - .offset:         80
        .size:           4
        .value_kind:     hidden_block_count_x
      - .offset:         84
        .size:           4
        .value_kind:     hidden_block_count_y
      - .offset:         88
        .size:           4
        .value_kind:     hidden_block_count_z
      - .offset:         92
        .size:           2
        .value_kind:     hidden_group_size_x
      - .offset:         94
        .size:           2
        .value_kind:     hidden_group_size_y
      - .offset:         96
        .size:           2
        .value_kind:     hidden_group_size_z
      - .offset:         98
        .size:           2
        .value_kind:     hidden_remainder_x
      - .offset:         100
        .size:           2
        .value_kind:     hidden_remainder_y
      - .offset:         102
        .size:           2
        .value_kind:     hidden_remainder_z
      - .offset:         120
        .size:           8
        .value_kind:     hidden_global_offset_x
      - .offset:         128
        .size:           8
        .value_kind:     hidden_global_offset_y
      - .offset:         136
        .size:           8
        .value_kind:     hidden_global_offset_z
      - .offset:         144
        .size:           2
        .value_kind:     hidden_grid_dims
    .group_segment_fixed_size: 68
    .kernarg_segment_align: 8
    .kernarg_segment_size: 336
    .language:       OpenCL C
    .language_version:
      - 2
      - 0
    .max_flat_workgroup_size: 1024
    .name:           _ZN4vllm15rms_norm_kernelIfLi16ELi4EEEvPT_PKS1_lllllS4_fii
    .private_segment_fixed_size: 0
    .sgpr_count:     39
    .sgpr_spill_count: 0
    .symbol:         _ZN4vllm15rms_norm_kernelIfLi16ELi4EEEvPT_PKS1_lllllS4_fii.kd
    .uniform_work_group_size: 1
    .uses_dynamic_stack: false
    .vgpr_count:     86
    .vgpr_spill_count: 0
    .wavefront_size: 64
  - .agpr_count:     0
    .args:
      - .actual_access:  write_only
        .address_space:  global
        .offset:         0
        .size:           8
        .value_kind:     global_buffer
      - .address_space:  global
        .offset:         8
        .size:           8
        .value_kind:     global_buffer
      - .offset:         16
        .size:           8
        .value_kind:     by_value
      - .offset:         24
        .size:           8
        .value_kind:     by_value
      - .offset:         32
        .size:           8
        .value_kind:     by_value
      - .offset:         40
        .size:           8
        .value_kind:     by_value
      - .offset:         48
        .size:           8
        .value_kind:     by_value
      - .actual_access:  read_only
        .address_space:  global
        .offset:         56
        .size:           8
        .value_kind:     global_buffer
      - .offset:         64
        .size:           4
        .value_kind:     by_value
      - .offset:         68
        .size:           4
        .value_kind:     by_value
      - .offset:         72
        .size:           4
        .value_kind:     by_value
      - .offset:         80
        .size:           4
        .value_kind:     hidden_block_count_x
      - .offset:         84
        .size:           4
        .value_kind:     hidden_block_count_y
      - .offset:         88
        .size:           4
        .value_kind:     hidden_block_count_z
      - .offset:         92
        .size:           2
        .value_kind:     hidden_group_size_x
      - .offset:         94
        .size:           2
        .value_kind:     hidden_group_size_y
      - .offset:         96
        .size:           2
        .value_kind:     hidden_group_size_z
      - .offset:         98
        .size:           2
        .value_kind:     hidden_remainder_x
      - .offset:         100
        .size:           2
        .value_kind:     hidden_remainder_y
      - .offset:         102
        .size:           2
        .value_kind:     hidden_remainder_z
      - .offset:         120
        .size:           8
        .value_kind:     hidden_global_offset_x
      - .offset:         128
        .size:           8
        .value_kind:     hidden_global_offset_y
      - .offset:         136
        .size:           8
        .value_kind:     hidden_global_offset_z
      - .offset:         144
        .size:           2
        .value_kind:     hidden_grid_dims
    .group_segment_fixed_size: 68
    .kernarg_segment_align: 8
    .kernarg_segment_size: 336
    .language:       OpenCL C
    .language_version:
      - 2
      - 0
    .max_flat_workgroup_size: 1024
    .name:           _ZN4vllm15rms_norm_kernelIfLi8ELi4EEEvPT_PKS1_lllllS4_fii
    .private_segment_fixed_size: 0
    .sgpr_count:     39
    .sgpr_spill_count: 0
    .symbol:         _ZN4vllm15rms_norm_kernelIfLi8ELi4EEEvPT_PKS1_lllllS4_fii.kd
    .uniform_work_group_size: 1
    .uses_dynamic_stack: false
    .vgpr_count:     54
    .vgpr_spill_count: 0
    .wavefront_size: 64
  - .agpr_count:     0
    .args:
      - .actual_access:  write_only
        .address_space:  global
        .offset:         0
        .size:           8
        .value_kind:     global_buffer
      - .address_space:  global
        .offset:         8
        .size:           8
        .value_kind:     global_buffer
      - .offset:         16
        .size:           8
        .value_kind:     by_value
      - .offset:         24
        .size:           8
        .value_kind:     by_value
      - .offset:         32
        .size:           8
        .value_kind:     by_value
      - .offset:         40
        .size:           8
        .value_kind:     by_value
      - .offset:         48
        .size:           8
        .value_kind:     by_value
      - .actual_access:  read_only
        .address_space:  global
        .offset:         56
        .size:           8
        .value_kind:     global_buffer
      - .offset:         64
        .size:           4
        .value_kind:     by_value
      - .offset:         68
        .size:           4
        .value_kind:     by_value
      - .offset:         72
        .size:           4
        .value_kind:     by_value
      - .offset:         80
        .size:           4
        .value_kind:     hidden_block_count_x
      - .offset:         84
        .size:           4
        .value_kind:     hidden_block_count_y
      - .offset:         88
        .size:           4
        .value_kind:     hidden_block_count_z
      - .offset:         92
        .size:           2
        .value_kind:     hidden_group_size_x
      - .offset:         94
        .size:           2
        .value_kind:     hidden_group_size_y
      - .offset:         96
        .size:           2
        .value_kind:     hidden_group_size_z
      - .offset:         98
        .size:           2
        .value_kind:     hidden_remainder_x
      - .offset:         100
        .size:           2
        .value_kind:     hidden_remainder_y
      - .offset:         102
        .size:           2
        .value_kind:     hidden_remainder_z
      - .offset:         120
        .size:           8
        .value_kind:     hidden_global_offset_x
      - .offset:         128
        .size:           8
        .value_kind:     hidden_global_offset_y
      - .offset:         136
        .size:           8
        .value_kind:     hidden_global_offset_z
      - .offset:         144
        .size:           2
        .value_kind:     hidden_grid_dims
    .group_segment_fixed_size: 68
    .kernarg_segment_align: 8
    .kernarg_segment_size: 336
    .language:       OpenCL C
    .language_version:
      - 2
      - 0
    .max_flat_workgroup_size: 1024
    .name:           _ZN4vllm15rms_norm_kernelIfLi4ELi4EEEvPT_PKS1_lllllS4_fii
    .private_segment_fixed_size: 0
    .sgpr_count:     39
    .sgpr_spill_count: 0
    .symbol:         _ZN4vllm15rms_norm_kernelIfLi4ELi4EEEvPT_PKS1_lllllS4_fii.kd
    .uniform_work_group_size: 1
    .uses_dynamic_stack: false
    .vgpr_count:     38
    .vgpr_spill_count: 0
    .wavefront_size: 64
  - .agpr_count:     0
    .args:
      - .actual_access:  write_only
        .address_space:  global
        .offset:         0
        .size:           8
        .value_kind:     global_buffer
      - .address_space:  global
        .offset:         8
        .size:           8
        .value_kind:     global_buffer
      - .offset:         16
        .size:           8
        .value_kind:     by_value
      - .offset:         24
        .size:           8
        .value_kind:     by_value
      - .offset:         32
        .size:           8
        .value_kind:     by_value
      - .offset:         40
        .size:           8
        .value_kind:     by_value
      - .offset:         48
        .size:           8
        .value_kind:     by_value
      - .actual_access:  read_only
        .address_space:  global
        .offset:         56
        .size:           8
        .value_kind:     global_buffer
      - .offset:         64
        .size:           4
        .value_kind:     by_value
      - .offset:         68
        .size:           4
        .value_kind:     by_value
      - .offset:         72
        .size:           4
        .value_kind:     by_value
      - .offset:         80
        .size:           4
        .value_kind:     hidden_block_count_x
      - .offset:         84
        .size:           4
        .value_kind:     hidden_block_count_y
      - .offset:         88
        .size:           4
        .value_kind:     hidden_block_count_z
      - .offset:         92
        .size:           2
        .value_kind:     hidden_group_size_x
      - .offset:         94
        .size:           2
        .value_kind:     hidden_group_size_y
      - .offset:         96
        .size:           2
        .value_kind:     hidden_group_size_z
      - .offset:         98
        .size:           2
        .value_kind:     hidden_remainder_x
      - .offset:         100
        .size:           2
        .value_kind:     hidden_remainder_y
      - .offset:         102
        .size:           2
        .value_kind:     hidden_remainder_z
      - .offset:         120
        .size:           8
        .value_kind:     hidden_global_offset_x
      - .offset:         128
        .size:           8
        .value_kind:     hidden_global_offset_y
      - .offset:         136
        .size:           8
        .value_kind:     hidden_global_offset_z
      - .offset:         144
        .size:           2
        .value_kind:     hidden_grid_dims
    .group_segment_fixed_size: 68
    .kernarg_segment_align: 8
    .kernarg_segment_size: 336
    .language:       OpenCL C
    .language_version:
      - 2
      - 0
    .max_flat_workgroup_size: 1024
    .name:           _ZN4vllm15rms_norm_kernelIfLi2ELi4EEEvPT_PKS1_lllllS4_fii
    .private_segment_fixed_size: 0
    .sgpr_count:     39
    .sgpr_spill_count: 0
    .symbol:         _ZN4vllm15rms_norm_kernelIfLi2ELi4EEEvPT_PKS1_lllllS4_fii.kd
    .uniform_work_group_size: 1
    .uses_dynamic_stack: false
    .vgpr_count:     34
    .vgpr_spill_count: 0
    .wavefront_size: 64
  - .agpr_count:     0
    .args:
      - .actual_access:  write_only
        .address_space:  global
        .offset:         0
        .size:           8
        .value_kind:     global_buffer
      - .address_space:  global
        .offset:         8
        .size:           8
        .value_kind:     global_buffer
      - .offset:         16
        .size:           8
        .value_kind:     by_value
      - .offset:         24
        .size:           8
        .value_kind:     by_value
      - .offset:         32
        .size:           8
        .value_kind:     by_value
      - .offset:         40
        .size:           8
        .value_kind:     by_value
      - .offset:         48
        .size:           8
        .value_kind:     by_value
      - .actual_access:  read_only
        .address_space:  global
        .offset:         56
        .size:           8
        .value_kind:     global_buffer
      - .offset:         64
        .size:           4
        .value_kind:     by_value
      - .offset:         68
        .size:           4
        .value_kind:     by_value
      - .offset:         72
        .size:           4
        .value_kind:     by_value
      - .offset:         80
        .size:           4
        .value_kind:     hidden_block_count_x
      - .offset:         84
        .size:           4
        .value_kind:     hidden_block_count_y
      - .offset:         88
        .size:           4
        .value_kind:     hidden_block_count_z
      - .offset:         92
        .size:           2
        .value_kind:     hidden_group_size_x
      - .offset:         94
        .size:           2
        .value_kind:     hidden_group_size_y
      - .offset:         96
        .size:           2
        .value_kind:     hidden_group_size_z
      - .offset:         98
        .size:           2
        .value_kind:     hidden_remainder_x
      - .offset:         100
        .size:           2
        .value_kind:     hidden_remainder_y
      - .offset:         102
        .size:           2
        .value_kind:     hidden_remainder_z
      - .offset:         120
        .size:           8
        .value_kind:     hidden_global_offset_x
      - .offset:         128
        .size:           8
        .value_kind:     hidden_global_offset_y
      - .offset:         136
        .size:           8
        .value_kind:     hidden_global_offset_z
      - .offset:         144
        .size:           2
        .value_kind:     hidden_grid_dims
    .group_segment_fixed_size: 68
    .kernarg_segment_align: 8
    .kernarg_segment_size: 336
    .language:       OpenCL C
    .language_version:
      - 2
      - 0
    .max_flat_workgroup_size: 1024
    .name:           _ZN4vllm15rms_norm_kernelIfLi1ELi4EEEvPT_PKS1_lllllS4_fii
    .private_segment_fixed_size: 0
    .sgpr_count:     39
    .sgpr_spill_count: 0
    .symbol:         _ZN4vllm15rms_norm_kernelIfLi1ELi4EEEvPT_PKS1_lllllS4_fii.kd
    .uniform_work_group_size: 1
    .uses_dynamic_stack: false
    .vgpr_count:     10
    .vgpr_spill_count: 0
    .wavefront_size: 64
  - .agpr_count:     0
    .args:
      - .actual_access:  write_only
        .address_space:  global
        .offset:         0
        .size:           8
        .value_kind:     global_buffer
      - .address_space:  global
        .offset:         8
        .size:           8
        .value_kind:     global_buffer
      - .offset:         16
        .size:           8
        .value_kind:     by_value
      - .offset:         24
        .size:           8
        .value_kind:     by_value
      - .offset:         32
        .size:           8
        .value_kind:     by_value
      - .offset:         40
        .size:           8
        .value_kind:     by_value
      - .offset:         48
        .size:           8
        .value_kind:     by_value
      - .actual_access:  read_only
        .address_space:  global
        .offset:         56
        .size:           8
        .value_kind:     global_buffer
      - .offset:         64
        .size:           4
        .value_kind:     by_value
      - .offset:         68
        .size:           4
        .value_kind:     by_value
      - .offset:         72
        .size:           4
        .value_kind:     by_value
      - .offset:         80
        .size:           4
        .value_kind:     hidden_block_count_x
      - .offset:         84
        .size:           4
        .value_kind:     hidden_block_count_y
      - .offset:         88
        .size:           4
        .value_kind:     hidden_block_count_z
      - .offset:         92
        .size:           2
        .value_kind:     hidden_group_size_x
      - .offset:         94
        .size:           2
        .value_kind:     hidden_group_size_y
      - .offset:         96
        .size:           2
        .value_kind:     hidden_group_size_z
      - .offset:         98
        .size:           2
        .value_kind:     hidden_remainder_x
      - .offset:         100
        .size:           2
        .value_kind:     hidden_remainder_y
      - .offset:         102
        .size:           2
        .value_kind:     hidden_remainder_z
      - .offset:         120
        .size:           8
        .value_kind:     hidden_global_offset_x
      - .offset:         128
        .size:           8
        .value_kind:     hidden_global_offset_y
      - .offset:         136
        .size:           8
        .value_kind:     hidden_global_offset_z
      - .offset:         144
        .size:           2
        .value_kind:     hidden_grid_dims
    .group_segment_fixed_size: 68
    .kernarg_segment_align: 8
    .kernarg_segment_size: 336
    .language:       OpenCL C
    .language_version:
      - 2
      - 0
    .max_flat_workgroup_size: 1024
    .name:           _ZN4vllm15rms_norm_kernelIN3c104HalfELi16ELi4EEEvPT_PKS3_lllllS6_fii
    .private_segment_fixed_size: 0
    .sgpr_count:     39
    .sgpr_spill_count: 0
    .symbol:         _ZN4vllm15rms_norm_kernelIN3c104HalfELi16ELi4EEEvPT_PKS3_lllllS6_fii.kd
    .uniform_work_group_size: 1
    .uses_dynamic_stack: false
    .vgpr_count:     34
    .vgpr_spill_count: 0
    .wavefront_size: 64
  - .agpr_count:     0
    .args:
      - .actual_access:  write_only
        .address_space:  global
        .offset:         0
        .size:           8
        .value_kind:     global_buffer
      - .address_space:  global
        .offset:         8
        .size:           8
        .value_kind:     global_buffer
      - .offset:         16
        .size:           8
        .value_kind:     by_value
      - .offset:         24
        .size:           8
        .value_kind:     by_value
      - .offset:         32
        .size:           8
        .value_kind:     by_value
      - .offset:         40
        .size:           8
        .value_kind:     by_value
      - .offset:         48
        .size:           8
        .value_kind:     by_value
      - .actual_access:  read_only
        .address_space:  global
        .offset:         56
        .size:           8
        .value_kind:     global_buffer
      - .offset:         64
        .size:           4
        .value_kind:     by_value
      - .offset:         68
        .size:           4
        .value_kind:     by_value
      - .offset:         72
        .size:           4
        .value_kind:     by_value
      - .offset:         80
        .size:           4
        .value_kind:     hidden_block_count_x
      - .offset:         84
        .size:           4
        .value_kind:     hidden_block_count_y
      - .offset:         88
        .size:           4
        .value_kind:     hidden_block_count_z
      - .offset:         92
        .size:           2
        .value_kind:     hidden_group_size_x
      - .offset:         94
        .size:           2
        .value_kind:     hidden_group_size_y
      - .offset:         96
        .size:           2
        .value_kind:     hidden_group_size_z
      - .offset:         98
        .size:           2
        .value_kind:     hidden_remainder_x
      - .offset:         100
        .size:           2
        .value_kind:     hidden_remainder_y
      - .offset:         102
        .size:           2
        .value_kind:     hidden_remainder_z
      - .offset:         120
        .size:           8
        .value_kind:     hidden_global_offset_x
      - .offset:         128
        .size:           8
        .value_kind:     hidden_global_offset_y
      - .offset:         136
        .size:           8
        .value_kind:     hidden_global_offset_z
      - .offset:         144
        .size:           2
        .value_kind:     hidden_grid_dims
    .group_segment_fixed_size: 68
    .kernarg_segment_align: 8
    .kernarg_segment_size: 336
    .language:       OpenCL C
    .language_version:
      - 2
      - 0
    .max_flat_workgroup_size: 1024
    .name:           _ZN4vllm15rms_norm_kernelIN3c104HalfELi8ELi4EEEvPT_PKS3_lllllS6_fii
    .private_segment_fixed_size: 0
    .sgpr_count:     39
    .sgpr_spill_count: 0
    .symbol:         _ZN4vllm15rms_norm_kernelIN3c104HalfELi8ELi4EEEvPT_PKS3_lllllS6_fii.kd
    .uniform_work_group_size: 1
    .uses_dynamic_stack: false
    .vgpr_count:     28
    .vgpr_spill_count: 0
    .wavefront_size: 64
  - .agpr_count:     0
    .args:
      - .actual_access:  write_only
        .address_space:  global
        .offset:         0
        .size:           8
        .value_kind:     global_buffer
      - .address_space:  global
        .offset:         8
        .size:           8
        .value_kind:     global_buffer
      - .offset:         16
        .size:           8
        .value_kind:     by_value
      - .offset:         24
        .size:           8
        .value_kind:     by_value
      - .offset:         32
        .size:           8
        .value_kind:     by_value
      - .offset:         40
        .size:           8
        .value_kind:     by_value
      - .offset:         48
        .size:           8
        .value_kind:     by_value
      - .actual_access:  read_only
        .address_space:  global
        .offset:         56
        .size:           8
        .value_kind:     global_buffer
      - .offset:         64
        .size:           4
        .value_kind:     by_value
      - .offset:         68
        .size:           4
        .value_kind:     by_value
      - .offset:         72
        .size:           4
        .value_kind:     by_value
      - .offset:         80
        .size:           4
        .value_kind:     hidden_block_count_x
      - .offset:         84
        .size:           4
        .value_kind:     hidden_block_count_y
      - .offset:         88
        .size:           4
        .value_kind:     hidden_block_count_z
      - .offset:         92
        .size:           2
        .value_kind:     hidden_group_size_x
      - .offset:         94
        .size:           2
        .value_kind:     hidden_group_size_y
      - .offset:         96
        .size:           2
        .value_kind:     hidden_group_size_z
      - .offset:         98
        .size:           2
        .value_kind:     hidden_remainder_x
      - .offset:         100
        .size:           2
        .value_kind:     hidden_remainder_y
      - .offset:         102
        .size:           2
        .value_kind:     hidden_remainder_z
      - .offset:         120
        .size:           8
        .value_kind:     hidden_global_offset_x
      - .offset:         128
        .size:           8
        .value_kind:     hidden_global_offset_y
      - .offset:         136
        .size:           8
        .value_kind:     hidden_global_offset_z
      - .offset:         144
        .size:           2
        .value_kind:     hidden_grid_dims
    .group_segment_fixed_size: 68
    .kernarg_segment_align: 8
    .kernarg_segment_size: 336
    .language:       OpenCL C
    .language_version:
      - 2
      - 0
    .max_flat_workgroup_size: 1024
    .name:           _ZN4vllm15rms_norm_kernelIN3c104HalfELi4ELi4EEEvPT_PKS3_lllllS6_fii
    .private_segment_fixed_size: 0
    .sgpr_count:     39
    .sgpr_spill_count: 0
    .symbol:         _ZN4vllm15rms_norm_kernelIN3c104HalfELi4ELi4EEEvPT_PKS3_lllllS6_fii.kd
    .uniform_work_group_size: 1
    .uses_dynamic_stack: false
    .vgpr_count:     22
    .vgpr_spill_count: 0
    .wavefront_size: 64
  - .agpr_count:     0
    .args:
      - .actual_access:  write_only
        .address_space:  global
        .offset:         0
        .size:           8
        .value_kind:     global_buffer
      - .address_space:  global
        .offset:         8
        .size:           8
        .value_kind:     global_buffer
      - .offset:         16
        .size:           8
        .value_kind:     by_value
      - .offset:         24
        .size:           8
        .value_kind:     by_value
      - .offset:         32
        .size:           8
        .value_kind:     by_value
      - .offset:         40
        .size:           8
        .value_kind:     by_value
      - .offset:         48
        .size:           8
        .value_kind:     by_value
      - .actual_access:  read_only
        .address_space:  global
        .offset:         56
        .size:           8
        .value_kind:     global_buffer
      - .offset:         64
        .size:           4
        .value_kind:     by_value
      - .offset:         68
        .size:           4
        .value_kind:     by_value
      - .offset:         72
        .size:           4
        .value_kind:     by_value
      - .offset:         80
        .size:           4
        .value_kind:     hidden_block_count_x
      - .offset:         84
        .size:           4
        .value_kind:     hidden_block_count_y
      - .offset:         88
        .size:           4
        .value_kind:     hidden_block_count_z
      - .offset:         92
        .size:           2
        .value_kind:     hidden_group_size_x
      - .offset:         94
        .size:           2
        .value_kind:     hidden_group_size_y
      - .offset:         96
        .size:           2
        .value_kind:     hidden_group_size_z
      - .offset:         98
        .size:           2
        .value_kind:     hidden_remainder_x
      - .offset:         100
        .size:           2
        .value_kind:     hidden_remainder_y
      - .offset:         102
        .size:           2
        .value_kind:     hidden_remainder_z
      - .offset:         120
        .size:           8
        .value_kind:     hidden_global_offset_x
      - .offset:         128
        .size:           8
        .value_kind:     hidden_global_offset_y
      - .offset:         136
        .size:           8
        .value_kind:     hidden_global_offset_z
      - .offset:         144
        .size:           2
        .value_kind:     hidden_grid_dims
    .group_segment_fixed_size: 68
    .kernarg_segment_align: 8
    .kernarg_segment_size: 336
    .language:       OpenCL C
    .language_version:
      - 2
      - 0
    .max_flat_workgroup_size: 1024
    .name:           _ZN4vllm15rms_norm_kernelIN3c104HalfELi2ELi4EEEvPT_PKS3_lllllS6_fii
    .private_segment_fixed_size: 0
    .sgpr_count:     39
    .sgpr_spill_count: 0
    .symbol:         _ZN4vllm15rms_norm_kernelIN3c104HalfELi2ELi4EEEvPT_PKS3_lllllS6_fii.kd
    .uniform_work_group_size: 1
    .uses_dynamic_stack: false
    .vgpr_count:     28
    .vgpr_spill_count: 0
    .wavefront_size: 64
  - .agpr_count:     0
    .args:
      - .actual_access:  write_only
        .address_space:  global
        .offset:         0
        .size:           8
        .value_kind:     global_buffer
      - .address_space:  global
        .offset:         8
        .size:           8
        .value_kind:     global_buffer
      - .offset:         16
        .size:           8
        .value_kind:     by_value
      - .offset:         24
        .size:           8
        .value_kind:     by_value
      - .offset:         32
        .size:           8
        .value_kind:     by_value
      - .offset:         40
        .size:           8
        .value_kind:     by_value
      - .offset:         48
        .size:           8
        .value_kind:     by_value
      - .actual_access:  read_only
        .address_space:  global
        .offset:         56
        .size:           8
        .value_kind:     global_buffer
      - .offset:         64
        .size:           4
        .value_kind:     by_value
      - .offset:         68
        .size:           4
        .value_kind:     by_value
      - .offset:         72
        .size:           4
        .value_kind:     by_value
      - .offset:         80
        .size:           4
        .value_kind:     hidden_block_count_x
      - .offset:         84
        .size:           4
        .value_kind:     hidden_block_count_y
      - .offset:         88
        .size:           4
        .value_kind:     hidden_block_count_z
      - .offset:         92
        .size:           2
        .value_kind:     hidden_group_size_x
      - .offset:         94
        .size:           2
        .value_kind:     hidden_group_size_y
      - .offset:         96
        .size:           2
        .value_kind:     hidden_group_size_z
      - .offset:         98
        .size:           2
        .value_kind:     hidden_remainder_x
      - .offset:         100
        .size:           2
        .value_kind:     hidden_remainder_y
      - .offset:         102
        .size:           2
        .value_kind:     hidden_remainder_z
      - .offset:         120
        .size:           8
        .value_kind:     hidden_global_offset_x
      - .offset:         128
        .size:           8
        .value_kind:     hidden_global_offset_y
      - .offset:         136
        .size:           8
        .value_kind:     hidden_global_offset_z
      - .offset:         144
        .size:           2
        .value_kind:     hidden_grid_dims
    .group_segment_fixed_size: 68
    .kernarg_segment_align: 8
    .kernarg_segment_size: 336
    .language:       OpenCL C
    .language_version:
      - 2
      - 0
    .max_flat_workgroup_size: 1024
    .name:           _ZN4vllm15rms_norm_kernelIN3c104HalfELi1ELi4EEEvPT_PKS3_lllllS6_fii
    .private_segment_fixed_size: 0
    .sgpr_count:     39
    .sgpr_spill_count: 0
    .symbol:         _ZN4vllm15rms_norm_kernelIN3c104HalfELi1ELi4EEEvPT_PKS3_lllllS6_fii.kd
    .uniform_work_group_size: 1
    .uses_dynamic_stack: false
    .vgpr_count:     10
    .vgpr_spill_count: 0
    .wavefront_size: 64
  - .agpr_count:     0
    .args:
      - .actual_access:  write_only
        .address_space:  global
        .offset:         0
        .size:           8
        .value_kind:     global_buffer
      - .address_space:  global
        .offset:         8
        .size:           8
        .value_kind:     global_buffer
      - .offset:         16
        .size:           8
        .value_kind:     by_value
      - .offset:         24
        .size:           8
        .value_kind:     by_value
      - .offset:         32
        .size:           8
        .value_kind:     by_value
      - .offset:         40
        .size:           8
        .value_kind:     by_value
      - .offset:         48
        .size:           8
        .value_kind:     by_value
      - .actual_access:  read_only
        .address_space:  global
        .offset:         56
        .size:           8
        .value_kind:     global_buffer
      - .offset:         64
        .size:           4
        .value_kind:     by_value
      - .offset:         68
        .size:           4
        .value_kind:     by_value
      - .offset:         72
        .size:           4
        .value_kind:     by_value
      - .offset:         80
        .size:           4
        .value_kind:     hidden_block_count_x
      - .offset:         84
        .size:           4
        .value_kind:     hidden_block_count_y
      - .offset:         88
        .size:           4
        .value_kind:     hidden_block_count_z
      - .offset:         92
        .size:           2
        .value_kind:     hidden_group_size_x
      - .offset:         94
        .size:           2
        .value_kind:     hidden_group_size_y
      - .offset:         96
        .size:           2
        .value_kind:     hidden_group_size_z
      - .offset:         98
        .size:           2
        .value_kind:     hidden_remainder_x
      - .offset:         100
        .size:           2
        .value_kind:     hidden_remainder_y
      - .offset:         102
        .size:           2
        .value_kind:     hidden_remainder_z
      - .offset:         120
        .size:           8
        .value_kind:     hidden_global_offset_x
      - .offset:         128
        .size:           8
        .value_kind:     hidden_global_offset_y
      - .offset:         136
        .size:           8
        .value_kind:     hidden_global_offset_z
      - .offset:         144
        .size:           2
        .value_kind:     hidden_grid_dims
    .group_segment_fixed_size: 68
    .kernarg_segment_align: 8
    .kernarg_segment_size: 336
    .language:       OpenCL C
    .language_version:
      - 2
      - 0
    .max_flat_workgroup_size: 1024
    .name:           _ZN4vllm15rms_norm_kernelIN3c108BFloat16ELi16ELi4EEEvPT_PKS3_lllllS6_fii
    .private_segment_fixed_size: 0
    .sgpr_count:     48
    .sgpr_spill_count: 0
    .symbol:         _ZN4vllm15rms_norm_kernelIN3c108BFloat16ELi16ELi4EEEvPT_PKS3_lllllS6_fii.kd
    .uniform_work_group_size: 1
    .uses_dynamic_stack: false
    .vgpr_count:     59
    .vgpr_spill_count: 0
    .wavefront_size: 64
  - .agpr_count:     0
    .args:
      - .actual_access:  write_only
        .address_space:  global
        .offset:         0
        .size:           8
        .value_kind:     global_buffer
      - .address_space:  global
        .offset:         8
        .size:           8
        .value_kind:     global_buffer
      - .offset:         16
        .size:           8
        .value_kind:     by_value
      - .offset:         24
        .size:           8
        .value_kind:     by_value
      - .offset:         32
        .size:           8
        .value_kind:     by_value
      - .offset:         40
        .size:           8
        .value_kind:     by_value
      - .offset:         48
        .size:           8
        .value_kind:     by_value
      - .actual_access:  read_only
        .address_space:  global
        .offset:         56
        .size:           8
        .value_kind:     global_buffer
      - .offset:         64
        .size:           4
        .value_kind:     by_value
      - .offset:         68
        .size:           4
        .value_kind:     by_value
      - .offset:         72
        .size:           4
        .value_kind:     by_value
      - .offset:         80
        .size:           4
        .value_kind:     hidden_block_count_x
      - .offset:         84
        .size:           4
        .value_kind:     hidden_block_count_y
      - .offset:         88
        .size:           4
        .value_kind:     hidden_block_count_z
      - .offset:         92
        .size:           2
        .value_kind:     hidden_group_size_x
      - .offset:         94
        .size:           2
        .value_kind:     hidden_group_size_y
      - .offset:         96
        .size:           2
        .value_kind:     hidden_group_size_z
      - .offset:         98
        .size:           2
        .value_kind:     hidden_remainder_x
      - .offset:         100
        .size:           2
        .value_kind:     hidden_remainder_y
      - .offset:         102
        .size:           2
        .value_kind:     hidden_remainder_z
      - .offset:         120
        .size:           8
        .value_kind:     hidden_global_offset_x
      - .offset:         128
        .size:           8
        .value_kind:     hidden_global_offset_y
      - .offset:         136
        .size:           8
        .value_kind:     hidden_global_offset_z
      - .offset:         144
        .size:           2
        .value_kind:     hidden_grid_dims
    .group_segment_fixed_size: 68
    .kernarg_segment_align: 8
    .kernarg_segment_size: 336
    .language:       OpenCL C
    .language_version:
      - 2
      - 0
    .max_flat_workgroup_size: 1024
    .name:           _ZN4vllm15rms_norm_kernelIN3c108BFloat16ELi8ELi4EEEvPT_PKS3_lllllS6_fii
    .private_segment_fixed_size: 0
    .sgpr_count:     59
    .sgpr_spill_count: 0
    .symbol:         _ZN4vllm15rms_norm_kernelIN3c108BFloat16ELi8ELi4EEEvPT_PKS3_lllllS6_fii.kd
    .uniform_work_group_size: 1
    .uses_dynamic_stack: false
    .vgpr_count:     62
    .vgpr_spill_count: 0
    .wavefront_size: 64
  - .agpr_count:     0
    .args:
      - .actual_access:  write_only
        .address_space:  global
        .offset:         0
        .size:           8
        .value_kind:     global_buffer
      - .address_space:  global
        .offset:         8
        .size:           8
        .value_kind:     global_buffer
      - .offset:         16
        .size:           8
        .value_kind:     by_value
      - .offset:         24
        .size:           8
        .value_kind:     by_value
      - .offset:         32
        .size:           8
        .value_kind:     by_value
      - .offset:         40
        .size:           8
        .value_kind:     by_value
      - .offset:         48
        .size:           8
        .value_kind:     by_value
      - .actual_access:  read_only
        .address_space:  global
        .offset:         56
        .size:           8
        .value_kind:     global_buffer
      - .offset:         64
        .size:           4
        .value_kind:     by_value
      - .offset:         68
        .size:           4
        .value_kind:     by_value
      - .offset:         72
        .size:           4
        .value_kind:     by_value
      - .offset:         80
        .size:           4
        .value_kind:     hidden_block_count_x
      - .offset:         84
        .size:           4
        .value_kind:     hidden_block_count_y
      - .offset:         88
        .size:           4
        .value_kind:     hidden_block_count_z
      - .offset:         92
        .size:           2
        .value_kind:     hidden_group_size_x
      - .offset:         94
        .size:           2
        .value_kind:     hidden_group_size_y
      - .offset:         96
        .size:           2
        .value_kind:     hidden_group_size_z
      - .offset:         98
        .size:           2
        .value_kind:     hidden_remainder_x
      - .offset:         100
        .size:           2
        .value_kind:     hidden_remainder_y
      - .offset:         102
        .size:           2
        .value_kind:     hidden_remainder_z
      - .offset:         120
        .size:           8
        .value_kind:     hidden_global_offset_x
      - .offset:         128
        .size:           8
        .value_kind:     hidden_global_offset_y
      - .offset:         136
        .size:           8
        .value_kind:     hidden_global_offset_z
      - .offset:         144
        .size:           2
        .value_kind:     hidden_grid_dims
    .group_segment_fixed_size: 68
    .kernarg_segment_align: 8
    .kernarg_segment_size: 336
    .language:       OpenCL C
    .language_version:
      - 2
      - 0
    .max_flat_workgroup_size: 1024
    .name:           _ZN4vllm15rms_norm_kernelIN3c108BFloat16ELi4ELi4EEEvPT_PKS3_lllllS6_fii
    .private_segment_fixed_size: 0
    .sgpr_count:     39
    .sgpr_spill_count: 0
    .symbol:         _ZN4vllm15rms_norm_kernelIN3c108BFloat16ELi4ELi4EEEvPT_PKS3_lllllS6_fii.kd
    .uniform_work_group_size: 1
    .uses_dynamic_stack: false
    .vgpr_count:     27
    .vgpr_spill_count: 0
    .wavefront_size: 64
  - .agpr_count:     0
    .args:
      - .actual_access:  write_only
        .address_space:  global
        .offset:         0
        .size:           8
        .value_kind:     global_buffer
      - .address_space:  global
        .offset:         8
        .size:           8
        .value_kind:     global_buffer
      - .offset:         16
        .size:           8
        .value_kind:     by_value
      - .offset:         24
        .size:           8
        .value_kind:     by_value
      - .offset:         32
        .size:           8
        .value_kind:     by_value
      - .offset:         40
        .size:           8
        .value_kind:     by_value
      - .offset:         48
        .size:           8
        .value_kind:     by_value
      - .actual_access:  read_only
        .address_space:  global
        .offset:         56
        .size:           8
        .value_kind:     global_buffer
      - .offset:         64
        .size:           4
        .value_kind:     by_value
      - .offset:         68
        .size:           4
        .value_kind:     by_value
      - .offset:         72
        .size:           4
        .value_kind:     by_value
      - .offset:         80
        .size:           4
        .value_kind:     hidden_block_count_x
      - .offset:         84
        .size:           4
        .value_kind:     hidden_block_count_y
      - .offset:         88
        .size:           4
        .value_kind:     hidden_block_count_z
      - .offset:         92
        .size:           2
        .value_kind:     hidden_group_size_x
      - .offset:         94
        .size:           2
        .value_kind:     hidden_group_size_y
      - .offset:         96
        .size:           2
        .value_kind:     hidden_group_size_z
      - .offset:         98
        .size:           2
        .value_kind:     hidden_remainder_x
      - .offset:         100
        .size:           2
        .value_kind:     hidden_remainder_y
      - .offset:         102
        .size:           2
        .value_kind:     hidden_remainder_z
      - .offset:         120
        .size:           8
        .value_kind:     hidden_global_offset_x
      - .offset:         128
        .size:           8
        .value_kind:     hidden_global_offset_y
      - .offset:         136
        .size:           8
        .value_kind:     hidden_global_offset_z
      - .offset:         144
        .size:           2
        .value_kind:     hidden_grid_dims
    .group_segment_fixed_size: 68
    .kernarg_segment_align: 8
    .kernarg_segment_size: 336
    .language:       OpenCL C
    .language_version:
      - 2
      - 0
    .max_flat_workgroup_size: 1024
    .name:           _ZN4vllm15rms_norm_kernelIN3c108BFloat16ELi2ELi4EEEvPT_PKS3_lllllS6_fii
    .private_segment_fixed_size: 0
    .sgpr_count:     39
    .sgpr_spill_count: 0
    .symbol:         _ZN4vllm15rms_norm_kernelIN3c108BFloat16ELi2ELi4EEEvPT_PKS3_lllllS6_fii.kd
    .uniform_work_group_size: 1
    .uses_dynamic_stack: false
    .vgpr_count:     27
    .vgpr_spill_count: 0
    .wavefront_size: 64
  - .agpr_count:     0
    .args:
      - .actual_access:  write_only
        .address_space:  global
        .offset:         0
        .size:           8
        .value_kind:     global_buffer
      - .address_space:  global
        .offset:         8
        .size:           8
        .value_kind:     global_buffer
      - .offset:         16
        .size:           8
        .value_kind:     by_value
      - .offset:         24
        .size:           8
        .value_kind:     by_value
      - .offset:         32
        .size:           8
        .value_kind:     by_value
      - .offset:         40
        .size:           8
        .value_kind:     by_value
      - .offset:         48
        .size:           8
        .value_kind:     by_value
      - .actual_access:  read_only
        .address_space:  global
        .offset:         56
        .size:           8
        .value_kind:     global_buffer
      - .offset:         64
        .size:           4
        .value_kind:     by_value
      - .offset:         68
        .size:           4
        .value_kind:     by_value
      - .offset:         72
        .size:           4
        .value_kind:     by_value
      - .offset:         80
        .size:           4
        .value_kind:     hidden_block_count_x
      - .offset:         84
        .size:           4
        .value_kind:     hidden_block_count_y
      - .offset:         88
        .size:           4
        .value_kind:     hidden_block_count_z
      - .offset:         92
        .size:           2
        .value_kind:     hidden_group_size_x
      - .offset:         94
        .size:           2
        .value_kind:     hidden_group_size_y
      - .offset:         96
        .size:           2
        .value_kind:     hidden_group_size_z
      - .offset:         98
        .size:           2
        .value_kind:     hidden_remainder_x
      - .offset:         100
        .size:           2
        .value_kind:     hidden_remainder_y
      - .offset:         102
        .size:           2
        .value_kind:     hidden_remainder_z
      - .offset:         120
        .size:           8
        .value_kind:     hidden_global_offset_x
      - .offset:         128
        .size:           8
        .value_kind:     hidden_global_offset_y
      - .offset:         136
        .size:           8
        .value_kind:     hidden_global_offset_z
      - .offset:         144
        .size:           2
        .value_kind:     hidden_grid_dims
    .group_segment_fixed_size: 68
    .kernarg_segment_align: 8
    .kernarg_segment_size: 336
    .language:       OpenCL C
    .language_version:
      - 2
      - 0
    .max_flat_workgroup_size: 1024
    .name:           _ZN4vllm15rms_norm_kernelIN3c108BFloat16ELi1ELi4EEEvPT_PKS3_lllllS6_fii
    .private_segment_fixed_size: 0
    .sgpr_count:     39
    .sgpr_spill_count: 0
    .symbol:         _ZN4vllm15rms_norm_kernelIN3c108BFloat16ELi1ELi4EEEvPT_PKS3_lllllS6_fii.kd
    .uniform_work_group_size: 1
    .uses_dynamic_stack: false
    .vgpr_count:     15
    .vgpr_spill_count: 0
    .wavefront_size: 64
  - .agpr_count:     0
    .args:
      - .address_space:  global
        .offset:         0
        .size:           8
        .value_kind:     global_buffer
      - .offset:         8
        .size:           8
        .value_kind:     by_value
      - .address_space:  global
        .offset:         16
        .size:           8
        .value_kind:     global_buffer
      - .actual_access:  read_only
        .address_space:  global
        .offset:         24
        .size:           8
        .value_kind:     global_buffer
      - .offset:         32
        .size:           4
        .value_kind:     by_value
      - .offset:         36
        .size:           4
        .value_kind:     by_value
      - .offset:         40
        .size:           4
        .value_kind:     by_value
      - .offset:         48
        .size:           4
        .value_kind:     hidden_block_count_x
      - .offset:         52
        .size:           4
        .value_kind:     hidden_block_count_y
      - .offset:         56
        .size:           4
        .value_kind:     hidden_block_count_z
      - .offset:         60
        .size:           2
        .value_kind:     hidden_group_size_x
      - .offset:         62
        .size:           2
        .value_kind:     hidden_group_size_y
      - .offset:         64
        .size:           2
        .value_kind:     hidden_group_size_z
      - .offset:         66
        .size:           2
        .value_kind:     hidden_remainder_x
      - .offset:         68
        .size:           2
        .value_kind:     hidden_remainder_y
      - .offset:         70
        .size:           2
        .value_kind:     hidden_remainder_z
      - .offset:         88
        .size:           8
        .value_kind:     hidden_global_offset_x
      - .offset:         96
        .size:           8
        .value_kind:     hidden_global_offset_y
      - .offset:         104
        .size:           8
        .value_kind:     hidden_global_offset_z
      - .offset:         112
        .size:           2
        .value_kind:     hidden_grid_dims
    .group_segment_fixed_size: 68
    .kernarg_segment_align: 8
    .kernarg_segment_size: 304
    .language:       OpenCL C
    .language_version:
      - 2
      - 0
    .max_flat_workgroup_size: 1024
    .name:           _ZN4vllm25fused_add_rms_norm_kernelIfLi8EEENSt9enable_ifIXaagtT0_Li0Esr12_typeConvertIT_EE6existsEvE4typeEPS2_lS5_PKS2_fii
    .private_segment_fixed_size: 0
    .sgpr_count:     28
    .sgpr_spill_count: 0
    .symbol:         _ZN4vllm25fused_add_rms_norm_kernelIfLi8EEENSt9enable_ifIXaagtT0_Li0Esr12_typeConvertIT_EE6existsEvE4typeEPS2_lS5_PKS2_fii.kd
    .uniform_work_group_size: 1
    .uses_dynamic_stack: false
    .vgpr_count:     58
    .vgpr_spill_count: 0
    .wavefront_size: 64
  - .agpr_count:     0
    .args:
      - .address_space:  global
        .offset:         0
        .size:           8
        .value_kind:     global_buffer
      - .offset:         8
        .size:           8
        .value_kind:     by_value
      - .address_space:  global
        .offset:         16
        .size:           8
        .value_kind:     global_buffer
      - .actual_access:  read_only
        .address_space:  global
        .offset:         24
        .size:           8
        .value_kind:     global_buffer
      - .offset:         32
        .size:           4
        .value_kind:     by_value
      - .offset:         36
        .size:           4
        .value_kind:     by_value
      - .offset:         40
        .size:           4
        .value_kind:     by_value
      - .offset:         48
        .size:           4
        .value_kind:     hidden_block_count_x
      - .offset:         52
        .size:           4
        .value_kind:     hidden_block_count_y
      - .offset:         56
        .size:           4
        .value_kind:     hidden_block_count_z
      - .offset:         60
        .size:           2
        .value_kind:     hidden_group_size_x
      - .offset:         62
        .size:           2
        .value_kind:     hidden_group_size_y
      - .offset:         64
        .size:           2
        .value_kind:     hidden_group_size_z
      - .offset:         66
        .size:           2
        .value_kind:     hidden_remainder_x
      - .offset:         68
        .size:           2
        .value_kind:     hidden_remainder_y
      - .offset:         70
        .size:           2
        .value_kind:     hidden_remainder_z
      - .offset:         88
        .size:           8
        .value_kind:     hidden_global_offset_x
      - .offset:         96
        .size:           8
        .value_kind:     hidden_global_offset_y
      - .offset:         104
        .size:           8
        .value_kind:     hidden_global_offset_z
      - .offset:         112
        .size:           2
        .value_kind:     hidden_grid_dims
    .group_segment_fixed_size: 68
    .kernarg_segment_align: 8
    .kernarg_segment_size: 304
    .language:       OpenCL C
    .language_version:
      - 2
      - 0
    .max_flat_workgroup_size: 1024
    .name:           _ZN4vllm25fused_add_rms_norm_kernelIN3c104HalfELi8EEENSt9enable_ifIXaagtT0_Li0Esr12_typeConvertIT_EE6existsEvE4typeEPS4_lS7_PKS4_fii
    .private_segment_fixed_size: 0
    .sgpr_count:     27
    .sgpr_spill_count: 0
    .symbol:         _ZN4vllm25fused_add_rms_norm_kernelIN3c104HalfELi8EEENSt9enable_ifIXaagtT0_Li0Esr12_typeConvertIT_EE6existsEvE4typeEPS4_lS7_PKS4_fii.kd
    .uniform_work_group_size: 1
    .uses_dynamic_stack: false
    .vgpr_count:     30
    .vgpr_spill_count: 0
    .wavefront_size: 64
  - .agpr_count:     0
    .args:
      - .address_space:  global
        .offset:         0
        .size:           8
        .value_kind:     global_buffer
      - .offset:         8
        .size:           8
        .value_kind:     by_value
      - .address_space:  global
        .offset:         16
        .size:           8
        .value_kind:     global_buffer
      - .actual_access:  read_only
        .address_space:  global
        .offset:         24
        .size:           8
        .value_kind:     global_buffer
      - .offset:         32
        .size:           4
        .value_kind:     by_value
      - .offset:         36
        .size:           4
        .value_kind:     by_value
      - .offset:         40
        .size:           4
        .value_kind:     by_value
      - .offset:         48
        .size:           4
        .value_kind:     hidden_block_count_x
      - .offset:         52
        .size:           4
        .value_kind:     hidden_block_count_y
      - .offset:         56
        .size:           4
        .value_kind:     hidden_block_count_z
      - .offset:         60
        .size:           2
        .value_kind:     hidden_group_size_x
      - .offset:         62
        .size:           2
        .value_kind:     hidden_group_size_y
      - .offset:         64
        .size:           2
        .value_kind:     hidden_group_size_z
      - .offset:         66
        .size:           2
        .value_kind:     hidden_remainder_x
      - .offset:         68
        .size:           2
        .value_kind:     hidden_remainder_y
      - .offset:         70
        .size:           2
        .value_kind:     hidden_remainder_z
      - .offset:         88
        .size:           8
        .value_kind:     hidden_global_offset_x
      - .offset:         96
        .size:           8
        .value_kind:     hidden_global_offset_y
      - .offset:         104
        .size:           8
        .value_kind:     hidden_global_offset_z
      - .offset:         112
        .size:           2
        .value_kind:     hidden_grid_dims
    .group_segment_fixed_size: 68
    .kernarg_segment_align: 8
    .kernarg_segment_size: 304
    .language:       OpenCL C
    .language_version:
      - 2
      - 0
    .max_flat_workgroup_size: 1024
    .name:           _ZN4vllm25fused_add_rms_norm_kernelIN3c108BFloat16ELi8EEENSt9enable_ifIXaagtT0_Li0Esr12_typeConvertIT_EE6existsEvE4typeEPS4_lS7_PKS4_fii
    .private_segment_fixed_size: 0
    .sgpr_count:     33
    .sgpr_spill_count: 0
    .symbol:         _ZN4vllm25fused_add_rms_norm_kernelIN3c108BFloat16ELi8EEENSt9enable_ifIXaagtT0_Li0Esr12_typeConvertIT_EE6existsEvE4typeEPS4_lS7_PKS4_fii.kd
    .uniform_work_group_size: 1
    .uses_dynamic_stack: false
    .vgpr_count:     40
    .vgpr_spill_count: 0
    .wavefront_size: 64
  - .agpr_count:     0
    .args:
      - .address_space:  global
        .offset:         0
        .size:           8
        .value_kind:     global_buffer
      - .offset:         8
        .size:           8
        .value_kind:     by_value
      - .address_space:  global
        .offset:         16
        .size:           8
        .value_kind:     global_buffer
      - .actual_access:  read_only
        .address_space:  global
        .offset:         24
        .size:           8
        .value_kind:     global_buffer
      - .offset:         32
        .size:           4
        .value_kind:     by_value
      - .offset:         36
        .size:           4
        .value_kind:     by_value
      - .offset:         40
        .size:           4
        .value_kind:     by_value
      - .offset:         48
        .size:           4
        .value_kind:     hidden_block_count_x
      - .offset:         52
        .size:           4
        .value_kind:     hidden_block_count_y
      - .offset:         56
        .size:           4
        .value_kind:     hidden_block_count_z
      - .offset:         60
        .size:           2
        .value_kind:     hidden_group_size_x
      - .offset:         62
        .size:           2
        .value_kind:     hidden_group_size_y
      - .offset:         64
        .size:           2
        .value_kind:     hidden_group_size_z
      - .offset:         66
        .size:           2
        .value_kind:     hidden_remainder_x
      - .offset:         68
        .size:           2
        .value_kind:     hidden_remainder_y
      - .offset:         70
        .size:           2
        .value_kind:     hidden_remainder_z
      - .offset:         88
        .size:           8
        .value_kind:     hidden_global_offset_x
      - .offset:         96
        .size:           8
        .value_kind:     hidden_global_offset_y
      - .offset:         104
        .size:           8
        .value_kind:     hidden_global_offset_z
      - .offset:         112
        .size:           2
        .value_kind:     hidden_grid_dims
    .group_segment_fixed_size: 68
    .kernarg_segment_align: 8
    .kernarg_segment_size: 304
    .language:       OpenCL C
    .language_version:
      - 2
      - 0
    .max_flat_workgroup_size: 1024
    .name:           _ZN4vllm25fused_add_rms_norm_kernelIfLi0EEENSt9enable_ifIXooeqT0_Li0Entsr12_typeConvertIT_EE6existsEvE4typeEPS2_lS5_PKS2_fii
    .private_segment_fixed_size: 0
    .sgpr_count:     27
    .sgpr_spill_count: 0
    .symbol:         _ZN4vllm25fused_add_rms_norm_kernelIfLi0EEENSt9enable_ifIXooeqT0_Li0Entsr12_typeConvertIT_EE6existsEvE4typeEPS2_lS5_PKS2_fii.kd
    .uniform_work_group_size: 1
    .uses_dynamic_stack: false
    .vgpr_count:     16
    .vgpr_spill_count: 0
    .wavefront_size: 64
  - .agpr_count:     0
    .args:
      - .address_space:  global
        .offset:         0
        .size:           8
        .value_kind:     global_buffer
      - .offset:         8
        .size:           8
        .value_kind:     by_value
      - .address_space:  global
        .offset:         16
        .size:           8
        .value_kind:     global_buffer
      - .actual_access:  read_only
        .address_space:  global
        .offset:         24
        .size:           8
        .value_kind:     global_buffer
      - .offset:         32
        .size:           4
        .value_kind:     by_value
      - .offset:         36
        .size:           4
        .value_kind:     by_value
      - .offset:         40
        .size:           4
        .value_kind:     by_value
      - .offset:         48
        .size:           4
        .value_kind:     hidden_block_count_x
      - .offset:         52
        .size:           4
        .value_kind:     hidden_block_count_y
      - .offset:         56
        .size:           4
        .value_kind:     hidden_block_count_z
      - .offset:         60
        .size:           2
        .value_kind:     hidden_group_size_x
      - .offset:         62
        .size:           2
        .value_kind:     hidden_group_size_y
      - .offset:         64
        .size:           2
        .value_kind:     hidden_group_size_z
      - .offset:         66
        .size:           2
        .value_kind:     hidden_remainder_x
      - .offset:         68
        .size:           2
        .value_kind:     hidden_remainder_y
      - .offset:         70
        .size:           2
        .value_kind:     hidden_remainder_z
      - .offset:         88
        .size:           8
        .value_kind:     hidden_global_offset_x
      - .offset:         96
        .size:           8
        .value_kind:     hidden_global_offset_y
      - .offset:         104
        .size:           8
        .value_kind:     hidden_global_offset_z
      - .offset:         112
        .size:           2
        .value_kind:     hidden_grid_dims
    .group_segment_fixed_size: 68
    .kernarg_segment_align: 8
    .kernarg_segment_size: 304
    .language:       OpenCL C
    .language_version:
      - 2
      - 0
    .max_flat_workgroup_size: 1024
    .name:           _ZN4vllm25fused_add_rms_norm_kernelIN3c104HalfELi0EEENSt9enable_ifIXooeqT0_Li0Entsr12_typeConvertIT_EE6existsEvE4typeEPS4_lS7_PKS4_fii
    .private_segment_fixed_size: 0
    .sgpr_count:     27
    .sgpr_spill_count: 0
    .symbol:         _ZN4vllm25fused_add_rms_norm_kernelIN3c104HalfELi0EEENSt9enable_ifIXooeqT0_Li0Entsr12_typeConvertIT_EE6existsEvE4typeEPS4_lS7_PKS4_fii.kd
    .uniform_work_group_size: 1
    .uses_dynamic_stack: false
    .vgpr_count:     16
    .vgpr_spill_count: 0
    .wavefront_size: 64
  - .agpr_count:     0
    .args:
      - .address_space:  global
        .offset:         0
        .size:           8
        .value_kind:     global_buffer
      - .offset:         8
        .size:           8
        .value_kind:     by_value
      - .address_space:  global
        .offset:         16
        .size:           8
        .value_kind:     global_buffer
      - .actual_access:  read_only
        .address_space:  global
        .offset:         24
        .size:           8
        .value_kind:     global_buffer
      - .offset:         32
        .size:           4
        .value_kind:     by_value
      - .offset:         36
        .size:           4
        .value_kind:     by_value
      - .offset:         40
        .size:           4
        .value_kind:     by_value
      - .offset:         48
        .size:           4
        .value_kind:     hidden_block_count_x
      - .offset:         52
        .size:           4
        .value_kind:     hidden_block_count_y
      - .offset:         56
        .size:           4
        .value_kind:     hidden_block_count_z
      - .offset:         60
        .size:           2
        .value_kind:     hidden_group_size_x
      - .offset:         62
        .size:           2
        .value_kind:     hidden_group_size_y
      - .offset:         64
        .size:           2
        .value_kind:     hidden_group_size_z
      - .offset:         66
        .size:           2
        .value_kind:     hidden_remainder_x
      - .offset:         68
        .size:           2
        .value_kind:     hidden_remainder_y
      - .offset:         70
        .size:           2
        .value_kind:     hidden_remainder_z
      - .offset:         88
        .size:           8
        .value_kind:     hidden_global_offset_x
      - .offset:         96
        .size:           8
        .value_kind:     hidden_global_offset_y
      - .offset:         104
        .size:           8
        .value_kind:     hidden_global_offset_z
      - .offset:         112
        .size:           2
        .value_kind:     hidden_grid_dims
    .group_segment_fixed_size: 68
    .kernarg_segment_align: 8
    .kernarg_segment_size: 304
    .language:       OpenCL C
    .language_version:
      - 2
      - 0
    .max_flat_workgroup_size: 1024
    .name:           _ZN4vllm25fused_add_rms_norm_kernelIN3c108BFloat16ELi0EEENSt9enable_ifIXooeqT0_Li0Entsr12_typeConvertIT_EE6existsEvE4typeEPS4_lS7_PKS4_fii
    .private_segment_fixed_size: 0
    .sgpr_count:     27
    .sgpr_spill_count: 0
    .symbol:         _ZN4vllm25fused_add_rms_norm_kernelIN3c108BFloat16ELi0EEENSt9enable_ifIXooeqT0_Li0Entsr12_typeConvertIT_EE6existsEvE4typeEPS4_lS7_PKS4_fii.kd
    .uniform_work_group_size: 1
    .uses_dynamic_stack: false
    .vgpr_count:     18
    .vgpr_spill_count: 0
    .wavefront_size: 64
amdhsa.target:   amdgcn-amd-amdhsa--gfx90a
amdhsa.version:
  - 1
  - 2
...

	.end_amdgpu_metadata
